;; amdgpu-corpus repo=ROCm/rocFFT kind=compiled arch=gfx1201 opt=O3
	.text
	.amdgcn_target "amdgcn-amd-amdhsa--gfx1201"
	.amdhsa_code_object_version 6
	.protected	bluestein_single_back_len195_dim1_half_op_CI_CI ; -- Begin function bluestein_single_back_len195_dim1_half_op_CI_CI
	.globl	bluestein_single_back_len195_dim1_half_op_CI_CI
	.p2align	8
	.type	bluestein_single_back_len195_dim1_half_op_CI_CI,@function
bluestein_single_back_len195_dim1_half_op_CI_CI: ; @bluestein_single_back_len195_dim1_half_op_CI_CI
; %bb.0:
	s_load_b128 s[12:15], s[0:1], 0x28
	v_mul_u32_u24_e32 v1, 0x13b2, v0
	v_mov_b32_e32 v11, 0
	s_mov_b32 s2, exec_lo
	s_delay_alu instid0(VALU_DEP_2) | instskip(NEXT) | instid1(VALU_DEP_1)
	v_lshrrev_b32_e32 v4, 16, v1
	v_lshl_add_u32 v10, ttmp9, 2, v4
	s_wait_kmcnt 0x0
	s_delay_alu instid0(VALU_DEP_1)
	v_cmpx_gt_u64_e64 s[12:13], v[10:11]
	s_cbranch_execz .LBB0_15
; %bb.1:
	s_clause 0x1
	s_load_b128 s[4:7], s[0:1], 0x18
	s_load_b64 s[12:13], s[0:1], 0x0
	v_mul_lo_u16 v1, v4, 13
	s_delay_alu instid0(VALU_DEP_1) | instskip(NEXT) | instid1(VALU_DEP_1)
	v_sub_nc_u16 v8, v0, v1
	v_and_b32_e32 v71, 0xffff, v8
	s_delay_alu instid0(VALU_DEP_1)
	v_lshlrev_b32_e32 v35, 2, v71
	v_or_b32_e32 v51, 28, v71
	v_or_b32_e32 v50, 58, v71
	s_wait_kmcnt 0x0
	s_load_b128 s[8:11], s[4:5], 0x0
	s_clause 0x7
	global_load_b32 v76, v35, s[12:13]
	global_load_b32 v74, v35, s[12:13] offset:60
	global_load_b32 v72, v35, s[12:13] offset:120
	;; [unrolled: 1-line block ×7, first 2 shown]
	v_or_b32_e32 v49, 0x58, v71
	v_or_b32_e32 v48, 0x76, v71
	;; [unrolled: 1-line block ×4, first 2 shown]
	s_wait_kmcnt 0x0
	v_mad_co_u64_u32 v[0:1], null, s10, v10, 0
	v_mad_co_u64_u32 v[2:3], null, s8, v71, 0
	s_mul_u64 s[2:3], s[8:9], 60
	s_delay_alu instid0(VALU_DEP_1) | instskip(NEXT) | instid1(VALU_DEP_2)
	v_mad_co_u64_u32 v[5:6], null, s11, v10, v[1:2]
	v_mad_co_u64_u32 v[6:7], null, s9, v71, v[3:4]
	s_load_b64 s[10:11], s[0:1], 0x38
	s_delay_alu instid0(VALU_DEP_2) | instskip(NEXT) | instid1(VALU_DEP_1)
	v_dual_mov_b32 v1, v5 :: v_dual_and_b32 v4, 3, v4
	v_mul_u32_u24_e32 v4, 0xc3, v4
	s_delay_alu instid0(VALU_DEP_2) | instskip(NEXT) | instid1(VALU_DEP_2)
	v_lshlrev_b64_e32 v[0:1], 2, v[0:1]
	v_lshlrev_b32_e32 v79, 2, v4
	s_delay_alu instid0(VALU_DEP_1) | instskip(NEXT) | instid1(VALU_DEP_1)
	v_dual_mov_b32 v3, v6 :: v_dual_add_nc_u32 v46, v79, v35
	v_lshlrev_b64_e32 v[5:6], 2, v[2:3]
	s_delay_alu instid0(VALU_DEP_4) | instskip(SKIP_1) | instid1(VALU_DEP_2)
	v_add_co_u32 v2, vcc_lo, s14, v0
	v_add_co_ci_u32_e32 v3, vcc_lo, s15, v1, vcc_lo
	v_add_co_u32 v0, vcc_lo, v2, v5
	s_wait_alu 0xfffd
	s_delay_alu instid0(VALU_DEP_2)
	v_add_co_ci_u32_e32 v1, vcc_lo, v3, v6, vcc_lo
	global_load_b32 v7, v[0:1], off
	v_add_co_u32 v0, vcc_lo, v0, s2
	s_wait_alu 0xfffd
	v_add_co_ci_u32_e32 v1, vcc_lo, s3, v1, vcc_lo
	s_clause 0x3
	global_load_b32 v60, v35, s[12:13] offset:480
	global_load_b32 v58, v35, s[12:13] offset:540
	;; [unrolled: 1-line block ×4, first 2 shown]
	global_load_b32 v11, v[0:1], off
	v_add_co_u32 v0, vcc_lo, v0, s2
	s_wait_alu 0xfffd
	v_add_co_ci_u32_e32 v1, vcc_lo, s3, v1, vcc_lo
	global_load_b32 v52, v35, s[12:13] offset:720
	v_add_co_u32 v5, vcc_lo, v0, s2
	s_wait_alu 0xfffd
	v_add_co_ci_u32_e32 v6, vcc_lo, s3, v1, vcc_lo
	global_load_b32 v12, v[0:1], off
	v_add_co_u32 v0, vcc_lo, v5, s2
	s_wait_alu 0xfffd
	v_add_co_ci_u32_e32 v1, vcc_lo, s3, v6, vcc_lo
	s_clause 0x1
	global_load_b32 v13, v[5:6], off
	global_load_b32 v14, v[0:1], off
	v_add_co_u32 v0, vcc_lo, v0, s2
	s_wait_alu 0xfffd
	v_add_co_ci_u32_e32 v1, vcc_lo, s3, v1, vcc_lo
	s_delay_alu instid0(VALU_DEP_2) | instskip(SKIP_1) | instid1(VALU_DEP_2)
	v_add_co_u32 v5, vcc_lo, v0, s2
	s_wait_alu 0xfffd
	v_add_co_ci_u32_e32 v6, vcc_lo, s3, v1, vcc_lo
	global_load_b32 v15, v[0:1], off
	v_add_co_u32 v0, vcc_lo, v5, s2
	s_wait_alu 0xfffd
	v_add_co_ci_u32_e32 v1, vcc_lo, s3, v6, vcc_lo
	global_load_b32 v16, v[5:6], off
	global_load_b32 v17, v[0:1], off
	v_add_co_u32 v0, vcc_lo, v0, s2
	s_wait_alu 0xfffd
	v_add_co_ci_u32_e32 v1, vcc_lo, s3, v1, vcc_lo
	s_delay_alu instid0(VALU_DEP_2) | instskip(SKIP_1) | instid1(VALU_DEP_2)
	v_add_co_u32 v5, vcc_lo, v0, s2
	s_wait_alu 0xfffd
	v_add_co_ci_u32_e32 v6, vcc_lo, s3, v1, vcc_lo
	global_load_b32 v18, v[0:1], off
	v_add_co_u32 v0, vcc_lo, v5, s2
	s_wait_alu 0xfffd
	v_add_co_ci_u32_e32 v1, vcc_lo, s3, v6, vcc_lo
	global_load_b32 v19, v[5:6], off
	;; [unrolled: 4-line block ×4, first 2 shown]
	global_load_b32 v6, v[0:1], off
	s_load_b128 s[4:7], s[6:7], 0x0
	v_cmp_gt_u16_e32 vcc_lo, 2, v8
	v_add_co_u32 v8, s2, s12, v35
	s_wait_alu 0xf1ff
	v_add_co_ci_u32_e64 v9, null, s13, 0, s2
	s_wait_loadcnt 0x19
	v_lshrrev_b32_e32 v78, 16, v76
	s_wait_loadcnt 0x18
	v_lshrrev_b32_e32 v77, 16, v74
	;; [unrolled: 2-line block ×9, first 2 shown]
	v_mul_f16_e32 v21, v78, v7
	s_wait_loadcnt 0x10
	v_lshrrev_b32_e32 v61, 16, v60
	s_wait_loadcnt 0xf
	v_lshrrev_b32_e32 v59, 16, v58
	;; [unrolled: 2-line block ×3, first 2 shown]
	v_mul_f16_e32 v22, v78, v4
	s_wait_loadcnt 0xc
	v_lshrrev_b32_e32 v23, 16, v11
	v_mul_f16_e32 v24, v77, v11
	v_fma_f16 v4, v76, v4, -v21
	v_lshrrev_b32_e32 v55, 16, v53
	v_fmac_f16_e32 v22, v76, v7
	v_mul_f16_e32 v7, v77, v23
	v_fma_f16 v23, v74, v23, -v24
	s_wait_loadcnt 0xb
	v_lshrrev_b32_e32 v54, 16, v52
	s_wait_loadcnt 0xa
	v_lshrrev_b32_e32 v21, 16, v12
	v_mul_f16_e32 v24, v75, v12
	v_pack_b32_f16 v4, v22, v4
	v_fmac_f16_e32 v7, v74, v11
	s_delay_alu instid0(VALU_DEP_4)
	v_mul_f16_e32 v11, v75, v21
	s_wait_loadcnt 0x9
	v_lshrrev_b32_e32 v22, 16, v13
	v_mul_f16_e32 v25, v73, v13
	v_fma_f16 v21, v72, v21, -v24
	v_pack_b32_f16 v7, v7, v23
	v_fmac_f16_e32 v11, v72, v12
	v_mul_f16_e32 v12, v73, v22
	s_wait_loadcnt 0x8
	v_lshrrev_b32_e32 v23, 16, v14
	v_fma_f16 v22, v69, v22, -v25
	v_mul_f16_e32 v24, v70, v14
	ds_store_2addr_b32 v46, v4, v7 offset1:15
	v_pack_b32_f16 v4, v11, v21
	v_fmac_f16_e32 v12, v69, v13
	v_mul_f16_e32 v7, v70, v23
	s_wait_loadcnt 0x7
	v_lshrrev_b32_e32 v11, 16, v15
	v_mul_f16_e32 v13, v68, v15
	v_fma_f16 v21, v67, v23, -v24
	v_pack_b32_f16 v12, v12, v22
	v_fmac_f16_e32 v7, v67, v14
	v_mul_f16_e32 v14, v68, v11
	v_fma_f16 v11, v65, v11, -v13
	s_wait_loadcnt 0x6
	v_lshrrev_b32_e32 v13, 16, v16
	v_mul_f16_e32 v22, v66, v16
	ds_store_2addr_b32 v46, v4, v12 offset0:30 offset1:45
	v_pack_b32_f16 v4, v7, v21
	v_fmac_f16_e32 v14, v65, v15
	v_mul_f16_e32 v7, v66, v13
	s_wait_loadcnt 0x5
	v_lshrrev_b32_e32 v12, 16, v17
	v_mul_f16_e32 v15, v64, v17
	v_fma_f16 v13, v63, v13, -v22
	v_pack_b32_f16 v11, v14, v11
	v_fmac_f16_e32 v7, v63, v16
	v_mul_f16_e32 v14, v64, v12
	v_fma_f16 v12, v62, v12, -v15
	s_wait_loadcnt 0x4
	v_lshrrev_b32_e32 v15, 16, v18
	v_mul_f16_e32 v16, v61, v18
	ds_store_2addr_b32 v46, v4, v11 offset0:60 offset1:75
	v_pack_b32_f16 v4, v7, v13
	v_fmac_f16_e32 v14, v62, v17
	s_wait_loadcnt 0x3
	v_lshrrev_b32_e32 v7, 16, v19
	v_mul_f16_e32 v11, v61, v15
	v_fma_f16 v13, v60, v15, -v16
	v_mul_f16_e32 v15, v59, v19
	v_pack_b32_f16 v12, v14, v12
	v_mul_f16_e32 v14, v59, v7
	s_wait_loadcnt 0x2
	v_lshrrev_b32_e32 v16, 16, v20
	s_wait_loadcnt 0x1
	v_lshrrev_b32_e32 v17, 16, v5
	v_fma_f16 v7, v58, v7, -v15
	v_mul_f16_e32 v15, v57, v20
	v_fmac_f16_e32 v14, v58, v19
	s_wait_loadcnt 0x0
	v_lshrrev_b32_e32 v19, 16, v6
	v_fmac_f16_e32 v11, v60, v18
	v_mul_f16_e32 v18, v57, v16
	v_fma_f16 v15, v56, v16, -v15
	v_mul_f16_e32 v16, v55, v5
	v_mul_f16_e32 v21, v55, v17
	;; [unrolled: 1-line block ×4, first 2 shown]
	v_fmac_f16_e32 v18, v56, v20
	v_fma_f16 v16, v53, v17, -v16
	v_fmac_f16_e32 v21, v53, v5
	v_fma_f16 v5, v52, v19, -v22
	v_fmac_f16_e32 v23, v52, v6
	v_pack_b32_f16 v6, v11, v13
	v_pack_b32_f16 v7, v14, v7
	;; [unrolled: 1-line block ×5, first 2 shown]
	ds_store_2addr_b32 v46, v4, v12 offset0:90 offset1:105
	ds_store_2addr_b32 v46, v6, v7 offset0:120 offset1:135
	;; [unrolled: 1-line block ×3, first 2 shown]
	ds_store_b32 v46, v5 offset:720
	s_and_saveexec_b32 s3, vcc_lo
	s_cbranch_execz .LBB0_3
; %bb.2:
	v_mad_co_u64_u32 v[4:5], null, s8, v51, 0
	v_mad_co_u64_u32 v[6:7], null, s8, v50, 0
	;; [unrolled: 1-line block ×3, first 2 shown]
	s_mul_i32 s2, s9, 0xfffffd64
	s_mul_u64 s[14:15], s[8:9], 0x78
	s_wait_alu 0xfffe
	s_sub_co_i32 s2, s2, s8
	s_delay_alu instid0(VALU_DEP_2) | instskip(NEXT) | instid1(VALU_DEP_3)
	v_mad_co_u64_u32 v[11:12], null, s9, v51, v[5:6]
	v_mad_co_u64_u32 v[12:13], null, s9, v50, v[7:8]
	s_wait_alu 0xfffe
	v_add_nc_u32_e32 v1, s2, v1
	v_mad_co_u64_u32 v[13:14], null, s8, v49, 0
	s_delay_alu instid0(VALU_DEP_4)
	v_mov_b32_e32 v5, v11
	global_load_b32 v18, v[0:1], off
	v_mov_b32_e32 v7, v12
	v_mad_co_u64_u32 v[11:12], null, s8, v48, 0
	v_lshlrev_b64_e32 v[4:5], 2, v[4:5]
	v_mad_co_u64_u32 v[14:15], null, s9, v49, v[14:15]
	s_delay_alu instid0(VALU_DEP_4) | instskip(SKIP_1) | instid1(VALU_DEP_4)
	v_lshlrev_b64_e32 v[6:7], 2, v[6:7]
	v_mad_co_u64_u32 v[15:16], null, s8, v45, 0
	v_add_co_u32 v4, s2, v2, v4
	s_wait_alu 0xf1ff
	v_add_co_ci_u32_e64 v5, s2, v3, v5, s2
	v_add_co_u32 v0, s2, v0, s14
	s_wait_alu 0xf1ff
	v_add_co_ci_u32_e64 v1, s2, s15, v1, s2
	global_load_b32 v19, v[4:5], off
	v_add_co_u32 v4, s2, v2, v6
	s_wait_alu 0xf1ff
	v_add_co_ci_u32_e64 v5, s2, v3, v7, s2
	v_add_co_u32 v6, s2, v0, s14
	global_load_b32 v20, v[0:1], off
	v_mov_b32_e32 v0, v12
	s_wait_alu 0xf1ff
	v_add_co_ci_u32_e64 v7, s2, s15, v1, s2
	global_load_b32 v21, v[4:5], off
	global_load_b32 v22, v[6:7], off
	v_lshlrev_b64_e32 v[4:5], 2, v[13:14]
	v_mad_co_u64_u32 v[0:1], null, s9, v48, v[0:1]
	v_mad_co_u64_u32 v[13:14], null, s8, v47, 0
	s_clause 0x7
	global_load_b32 v23, v[8:9], off offset:52
	global_load_b32 v24, v[8:9], off offset:112
	;; [unrolled: 1-line block ×8, first 2 shown]
	v_add_co_u32 v4, s2, v2, v4
	s_wait_alu 0xf1ff
	v_add_co_ci_u32_e64 v5, s2, v3, v5, s2
	v_mov_b32_e32 v12, v0
	v_mov_b32_e32 v0, v14
	v_add_co_u32 v6, s2, v6, s14
	s_wait_alu 0xf1ff
	v_add_co_ci_u32_e64 v7, s2, s15, v7, s2
	s_delay_alu instid0(VALU_DEP_3)
	v_mad_co_u64_u32 v[0:1], null, s9, v47, v[0:1]
	v_mov_b32_e32 v1, v16
	v_lshlrev_b64_e32 v[11:12], 2, v[11:12]
	s_clause 0x3
	global_load_b32 v31, v[8:9], off offset:532
	global_load_b32 v32, v[8:9], off offset:592
	global_load_b32 v33, v[8:9], off offset:652
	global_load_b32 v34, v[8:9], off offset:712
	global_load_b32 v36, v[6:7], off
	v_mov_b32_e32 v14, v0
	v_mad_co_u64_u32 v[16:17], null, s9, v45, v[1:2]
	v_add_co_u32 v0, s2, v6, s14
	s_wait_alu 0xf1ff
	v_add_co_ci_u32_e64 v1, s2, s15, v7, s2
	v_lshlrev_b64_e32 v[6:7], 2, v[13:14]
	v_add_co_u32 v11, s2, v2, v11
	v_lshlrev_b64_e32 v[13:14], 2, v[15:16]
	s_wait_alu 0xf1ff
	v_add_co_ci_u32_e64 v12, s2, v3, v12, s2
	s_delay_alu instid0(VALU_DEP_4)
	v_add_co_u32 v6, s2, v2, v6
	s_wait_alu 0xf1ff
	v_add_co_ci_u32_e64 v7, s2, v3, v7, s2
	v_add_co_u32 v2, s2, v2, v13
	s_wait_alu 0xf1ff
	v_add_co_ci_u32_e64 v3, s2, v3, v14, s2
	global_load_b32 v37, v[0:1], off
	v_add_co_u32 v0, s2, v0, s14
	s_wait_alu 0xf1ff
	v_add_co_ci_u32_e64 v1, s2, s15, v1, s2
	global_load_b32 v17, v[8:9], off offset:772
	s_clause 0x3
	global_load_b32 v4, v[4:5], off
	global_load_b32 v5, v[11:12], off
	;; [unrolled: 1-line block ×5, first 2 shown]
	v_add_co_u32 v0, s2, v0, s14
	s_wait_alu 0xf1ff
	v_add_co_ci_u32_e64 v1, s2, s15, v1, s2
	global_load_b32 v0, v[0:1], off
	s_wait_loadcnt 0x19
	v_lshrrev_b32_e32 v39, 16, v18
	s_wait_loadcnt 0x17
	v_lshrrev_b32_e32 v44, 16, v20
	;; [unrolled: 2-line block ×7, first 2 shown]
	v_mul_f16_e32 v43, v1, v18
	v_mul_f16_e32 v1, v1, v39
	;; [unrolled: 1-line block ×4, first 2 shown]
	s_wait_loadcnt 0xe
	v_lshrrev_b32_e32 v15, 16, v29
	v_fma_f16 v39, v23, v39, -v43
	v_fmac_f16_e32 v1, v23, v18
	v_lshrrev_b32_e32 v18, 16, v22
	v_fma_f16 v23, v25, v44, -v81
	v_mul_f16_e32 v43, v13, v22
	v_fmac_f16_e32 v11, v25, v20
	v_pack_b32_f16 v1, v1, v39
	v_mul_f16_e32 v13, v13, v18
	v_lshrrev_b32_e32 v39, 16, v21
	v_fma_f16 v18, v27, v18, -v43
	v_pack_b32_f16 v11, v11, v23
	s_wait_loadcnt 0xa
	v_lshrrev_b32_e32 v41, 16, v33
	v_lshrrev_b32_e32 v38, 16, v31
	s_wait_loadcnt 0x8
	v_lshrrev_b32_e32 v20, 16, v36
	v_mul_f16_e32 v25, v15, v36
	v_fmac_f16_e32 v13, v27, v22
	v_lshrrev_b32_e32 v14, 16, v28
	v_lshrrev_b32_e32 v16, 16, v30
	v_mul_f16_e32 v15, v15, v20
	v_fma_f16 v20, v29, v20, -v25
	v_lshrrev_b32_e32 v25, 16, v19
	v_pack_b32_f16 v13, v13, v18
	v_lshrrev_b32_e32 v40, 16, v32
	v_fmac_f16_e32 v15, v29, v36
	v_mul_f16_e32 v27, v7, v19
	v_mul_f16_e32 v43, v12, v21
	v_lshrrev_b32_e32 v42, 16, v34
	v_mul_f16_e32 v7, v7, v25
	v_mul_f16_e32 v12, v12, v39
	v_pack_b32_f16 v15, v15, v20
	v_fma_f16 v25, v24, v25, -v27
	v_fma_f16 v27, v26, v39, -v43
	v_fmac_f16_e32 v7, v24, v19
	v_fmac_f16_e32 v12, v26, v21
	s_wait_loadcnt 0x7
	v_lshrrev_b32_e32 v22, 16, v37
	v_mul_f16_e32 v23, v38, v37
	s_wait_loadcnt 0x5
	v_lshrrev_b32_e32 v44, 16, v4
	s_wait_loadcnt 0x4
	v_lshrrev_b32_e32 v82, 16, v5
	v_mul_f16_e32 v18, v38, v22
	v_fma_f16 v22, v31, v22, -v23
	s_wait_loadcnt 0x3
	v_lshrrev_b32_e32 v84, 16, v6
	s_wait_loadcnt 0x1
	v_lshrrev_b32_e32 v23, 16, v3
	v_mul_f16_e32 v29, v41, v3
	v_lshrrev_b32_e32 v86, 16, v2
	v_lshrrev_b32_e32 v80, 16, v17
	v_mul_f16_e32 v81, v14, v4
	v_mul_f16_e32 v20, v41, v23
	v_fma_f16 v23, v33, v23, -v29
	v_mul_f16_e32 v14, v14, v44
	s_wait_loadcnt 0x0
	v_lshrrev_b32_e32 v29, 16, v0
	v_mul_f16_e32 v83, v16, v5
	v_mul_f16_e32 v16, v16, v82
	;; [unrolled: 1-line block ×6, first 2 shown]
	v_fmac_f16_e32 v18, v31, v37
	v_mul_f16_e32 v31, v80, v0
	v_fmac_f16_e32 v20, v33, v3
	v_mul_f16_e32 v3, v80, v29
	v_fma_f16 v36, v28, v44, -v81
	v_fmac_f16_e32 v14, v28, v4
	v_fma_f16 v38, v30, v82, -v83
	v_fmac_f16_e32 v16, v30, v5
	v_fma_f16 v40, v32, v84, -v85
	v_fmac_f16_e32 v39, v32, v6
	v_fma_f16 v43, v34, v86, -v87
	v_fmac_f16_e32 v42, v34, v2
	v_pack_b32_f16 v5, v7, v25
	v_fma_f16 v4, v17, v29, -v31
	v_pack_b32_f16 v6, v12, v27
	v_fmac_f16_e32 v3, v17, v0
	v_pack_b32_f16 v7, v14, v36
	v_pack_b32_f16 v12, v16, v38
	;; [unrolled: 1-line block ×5, first 2 shown]
	ds_store_2addr_b32 v46, v1, v5 offset0:13 offset1:28
	ds_store_2addr_b32 v46, v11, v6 offset0:43 offset1:58
	v_pack_b32_f16 v1, v42, v43
	v_pack_b32_f16 v3, v3, v4
	ds_store_2addr_b32 v46, v13, v7 offset0:73 offset1:88
	ds_store_2addr_b32 v46, v15, v12 offset0:103 offset1:118
	ds_store_2addr_b32 v46, v2, v14 offset0:133 offset1:148
	ds_store_2addr_b32 v46, v0, v1 offset0:163 offset1:178
	ds_store_b32 v46, v3 offset:772
.LBB0_3:
	s_wait_alu 0xfffe
	s_or_b32 exec_lo, exec_lo, s3
	global_wb scope:SCOPE_SE
	s_wait_dscnt 0x0
	s_wait_kmcnt 0x0
	s_barrier_signal -1
	s_barrier_wait -1
	global_inv scope:SCOPE_SE
	ds_load_2addr_b32 v[25:26], v46 offset1:15
	ds_load_2addr_b32 v[31:32], v46 offset0:30 offset1:45
	ds_load_2addr_b32 v[27:28], v46 offset0:60 offset1:75
	;; [unrolled: 1-line block ×5, first 2 shown]
	ds_load_b32 v93, v46 offset:720
	s_load_b64 s[2:3], s[0:1], 0x8
	v_mov_b32_e32 v0, 0
                                        ; implicit-def: $vgpr7
                                        ; implicit-def: $vgpr4
                                        ; implicit-def: $vgpr20
                                        ; implicit-def: $vgpr2
                                        ; implicit-def: $vgpr22
                                        ; implicit-def: $vgpr36
	s_and_saveexec_b32 s0, vcc_lo
	s_cbranch_execz .LBB0_5
; %bb.4:
	ds_load_2addr_b32 v[0:1], v46 offset0:13 offset1:28
	ds_load_2addr_b32 v[21:22], v46 offset0:43 offset1:58
	;; [unrolled: 1-line block ×6, first 2 shown]
	ds_load_b32 v36, v46 offset:772
.LBB0_5:
	s_wait_alu 0xfffe
	s_or_b32 exec_lo, exec_lo, s0
	s_wait_dscnt 0x0
	v_pk_add_f16 v11, v1, v36 neg_lo:[0,1] neg_hi:[0,1]
	v_pk_add_f16 v37, v36, v1
	v_pk_add_f16 v87, v21, v3 neg_lo:[0,1] neg_hi:[0,1]
	v_pk_add_f16 v40, v3, v21
	v_pk_add_f16 v108, v22, v2 neg_lo:[0,1] neg_hi:[0,1]
	v_lshrrev_b32_e32 v12, 16, v11
	v_lshrrev_b32_e32 v13, 16, v37
	v_mul_f16_e32 v39, 0xb94e, v11
	v_lshrrev_b32_e32 v42, 16, v87
	v_mul_f16_e32 v14, 0xba95, v11
	v_mul_f16_e32 v38, 0xb770, v12
	;; [unrolled: 1-line block ×3, first 2 shown]
	v_fmamk_f16 v90, v13, 0xb9fd, v39
	v_fma_f16 v91, v13, 0xb9fd, -v39
	v_mul_f16_e32 v39, 0xba95, v42
	v_fmamk_f16 v80, v37, 0x3b15, v38
	v_mul_f16_e32 v44, 0xbbf1, v12
	v_mul_f16_e32 v83, 0xbb7b, v12
	;; [unrolled: 1-line block ×5, first 2 shown]
	v_fmamk_f16 v96, v40, 0x388b, v39
	v_mul_f16_e32 v98, 0xb3a8, v42
	v_mul_f16_e32 v101, 0x394e, v42
	;; [unrolled: 1-line block ×3, first 2 shown]
	v_pk_add_f16 v42, v2, v22
	v_add_f16_e32 v80, v80, v0
	v_mul_f16_e32 v18, 0xba95, v12
	v_fmamk_f16 v43, v13, 0x388b, v14
	v_fma_f16 v14, v13, 0x388b, -v14
	v_fma_f16 v82, v37, 0x2fb7, -v44
	v_fmamk_f16 v84, v13, 0x2fb7, v15
	v_fmac_f16_e32 v44, 0x2fb7, v37
	v_fma_f16 v15, v13, 0x2fb7, -v15
	v_fma_f16 v85, v37, 0xb5ac, -v83
	v_fmamk_f16 v86, v13, 0xb5ac, v17
	v_fma_f16 v88, v13, 0xb5ac, -v17
	v_fmamk_f16 v17, v13, 0xbbc4, v41
	v_lshrrev_b32_e32 v94, 16, v40
	v_fma_f16 v13, v13, 0xbbc4, -v41
	v_mul_f16_e32 v41, 0xb3a8, v87
	v_lshrrev_b32_e32 v116, 16, v42
	v_lshrrev_b32_e32 v126, 16, v0
	v_add_f16_e32 v96, v96, v80
	v_mul_f16_e32 v80, 0xba95, v108
	v_fma_f16 v81, v37, 0x388b, -v18
	v_fmac_f16_e32 v18, 0x388b, v37
	v_mul_f16_e32 v12, 0xb94e, v12
	v_fmac_f16_e32 v83, 0xb5ac, v37
	v_mul_f16_e32 v95, 0xbb7b, v87
	v_fma_f16 v100, v40, 0xbbc4, -v98
	v_mul_f16_e32 v102, 0x394e, v87
	v_fmamk_f16 v103, v94, 0xbbc4, v41
	v_fmac_f16_e32 v98, 0xbbc4, v40
	v_fma_f16 v105, v40, 0xb9fd, -v101
	v_lshrrev_b32_e32 v111, 16, v108
	v_add_f16_e32 v84, v84, v126
	v_fma_f16 v130, 0x388b, v116, v80
	v_fma_f16 v131, v116, 0x388b, -v80
	v_add_f16_e32 v44, v44, v0
	v_add_f16_e32 v80, v85, v0
	v_fma_f16 v89, v37, 0xb9fd, -v12
	v_fma_f16 v97, v40, 0xb5ac, -v92
	v_fmamk_f16 v99, v94, 0xb5ac, v95
	v_fmac_f16_e32 v92, 0xb5ac, v40
	v_fma_f16 v104, v94, 0xbbc4, -v41
	v_fmamk_f16 v106, v94, 0xb9fd, v102
	v_mul_f16_e32 v41, 0x3bf1, v87
	v_fmac_f16_e32 v101, 0xb9fd, v40
	v_fma_f16 v102, v94, 0xb9fd, -v102
	v_mul_f16_e32 v114, 0x3770, v87
	v_mul_f16_e32 v115, 0xb3a8, v111
	v_add_f16_e32 v43, v43, v126
	v_add_f16_e32 v88, v88, v126
	;; [unrolled: 1-line block ×7, first 2 shown]
	v_pk_mul_f16 v44, 0xb3a8b770, v11
	v_fma_f16 v95, v94, 0xb5ac, -v95
	v_fmamk_f16 v110, v94, 0x2fb7, v41
	v_fma_f16 v112, v94, 0x2fb7, -v41
	v_mul_f16_e32 v113, 0x3b15, v94
	v_mul_f16_e32 v41, 0xbbf1, v111
	v_fma_f16 v118, v94, 0x3b15, -v114
	v_fma_f16 v120, v42, 0xbbc4, -v115
	v_mul_f16_e32 v121, 0x3b7b, v111
	v_mul_f16_e32 v94, 0x3b7b, v108
	v_fmac_f16_e32 v115, 0xbbc4, v42
	v_add_f16_e32 v14, v14, v126
	v_add_f16_e32 v81, v81, v0
	;; [unrolled: 1-line block ×5, first 2 shown]
	v_pk_add_f16 v82, v19, v5 neg_lo:[0,1] neg_hi:[0,1]
	v_add_f16_e32 v11, v89, v0
	v_add_f16_e32 v89, v101, v80
	;; [unrolled: 1-line block ×3, first 2 shown]
	v_pk_fma_f16 v102, 0x3b15bbc4, v37, v44 op_sel:[0,0,1] op_sel_hi:[1,1,0] neg_lo:[0,0,1] neg_hi:[0,0,1]
	v_pk_mul_f16 v80, 0x3770ba95, v87
	v_fmamk_f16 v119, v42, 0x2fb7, v41
	v_fma_f16 v123, v42, 0xb5ac, -v121
	v_fmamk_f16 v125, v116, 0xb5ac, v94
	v_fma_f16 v127, v116, 0xb5ac, -v94
	v_mul_f16_e32 v94, 0x3770, v108
	v_add_f16_e32 v86, v86, v126
	v_add_f16_e32 v90, v90, v126
	;; [unrolled: 1-line block ×5, first 2 shown]
	v_lshrrev_b32_e32 v100, 16, v82
	v_pk_add_f16 v102, v102, v0
	v_pk_fma_f16 v105, 0x388b3b15, v40, v80 op_sel:[0,0,1] op_sel_hi:[1,1,0] neg_lo:[0,0,1] neg_hi:[0,0,1]
	v_add_f16_e32 v18, v115, v18
	v_pk_add_f16 v115, v20, v4 neg_lo:[0,1] neg_hi:[0,1]
	v_fmac_f16_e32 v12, 0xb9fd, v37
	v_fma_f16 v109, v40, 0x2fb7, -v107
	v_mul_f16_e32 v124, 0x3770, v111
	v_fmac_f16_e32 v121, 0xb5ac, v42
	v_add_f16_e32 v15, v15, v126
	v_add_f16_e32 v91, v91, v126
	;; [unrolled: 1-line block ×3, first 2 shown]
	v_fmamk_f16 v126, v116, 0x3b15, v94
	v_mul_f16_e32 v111, 0xba95, v111
	v_fma_f16 v129, v116, 0x3b15, -v94
	v_pk_add_f16 v94, v5, v19
	v_add_f16_e32 v83, v106, v86
	v_mul_f16_e32 v86, 0x394e, v100
	v_add_f16_e32 v90, v110, v90
	v_pk_add_f16 v102, v105, v102
	v_mul_f16_e32 v105, 0x3770, v100
	v_add_f16_e32 v110, v119, v96
	v_add_f16_e32 v81, v120, v81
	;; [unrolled: 1-line block ×3, first 2 shown]
	v_lshrrev_b32_e32 v120, 16, v115
	v_pk_add_f16 v123, v6, v7 neg_lo:[0,1] neg_hi:[0,1]
	v_fmac_f16_e32 v107, 0x2fb7, v40
	v_mul_f16_e32 v117, 0xb3a8, v108
	v_fma_f16 v128, v42, 0x3b15, -v124
	v_fmac_f16_e32 v124, 0x3b15, v42
	v_fma_f16 v97, v42, 0x388b, -v111
	v_add_f16_e32 v15, v104, v15
	v_add_f16_e32 v12, v12, v0
	;; [unrolled: 1-line block ×3, first 2 shown]
	v_fma_f16 v106, v94, 0xb9fd, -v86
	v_add_f16_e32 v91, v112, v91
	v_fma_f16 v112, v94, 0x3b15, -v105
	v_add_f16_e32 v84, v125, v84
	v_add_f16_e32 v85, v121, v85
	v_pk_add_f16 v95, v4, v20
	v_mul_f16_e32 v121, 0x3bf1, v120
	v_add_f16_e32 v83, v126, v83
	v_mul_f16_e32 v125, 0xba95, v120
	v_lshrrev_b32_e32 v126, 16, v123
	v_fmamk_f16 v122, v116, 0xbbc4, v117
	v_fma_f16 v117, v116, 0xbbc4, -v117
	v_fmac_f16_e32 v111, 0x388b, v42
	v_mul_f16_e32 v92, 0xb94e, v108
	v_lshrrev_b32_e32 v101, 16, v94
	v_mul_f16_e32 v87, 0x394e, v82
	v_add_f16_e32 v12, v107, v12
	v_add_f16_e32 v15, v127, v15
	v_add_f16_e32 v89, v124, v89
	v_fma_f16 v124, v95, 0x2fb7, -v121
	v_add_f16_e32 v127, v97, v11
	v_fma_f16 v11, v95, 0x388b, -v125
	v_pk_add_f16 v96, v7, v6
	v_add_f16_e32 v81, v106, v81
	v_mul_f16_e32 v106, 0x3770, v126
	v_add_f16_e32 v97, v112, v119
	v_mul_f16_e32 v112, 0xb94e, v126
	v_fma_f16 v98, v116, 0xb9fd, -v92
	v_fmamk_f16 v107, v101, 0xb9fd, v87
	v_fmac_f16_e32 v86, 0xb9fd, v94
	v_add_f16_e32 v13, v118, v13
	v_mul_f16_e32 v109, 0x3770, v82
	v_fma_f16 v87, v101, 0xb9fd, -v87
	v_fmac_f16_e32 v105, 0x3b15, v94
	v_add_f16_e32 v14, v117, v14
	v_add_f16_e64 v103, v128, v103
	v_add_f16_e32 v111, v111, v12
	v_add_f16_e32 v12, v124, v81
	v_fma_f16 v81, v96, 0x3b15, -v106
	v_add_f16_e32 v124, v11, v97
	v_fma_f16 v128, v96, 0xb9fd, -v112
	v_pk_mul_f16 v97, 0xb94ebbf1, v108
	v_mul_f16_e32 v43, 0xbb7b, v100
	v_mul_f16_e64 v132, 0xb9fd, v116
	v_fmamk_f16 v116, v101, 0x3b15, v109
	v_add_f16_e32 v99, v122, v99
	v_mul_f16_e32 v118, 0xbbf1, v100
	v_fma_f16 v109, v101, 0x3b15, -v109
	v_mul_f16_e32 v122, 0xbbf1, v82
	v_mul_f16_e32 v108, 0x33a8, v100
	v_add_f16_e32 v11, v81, v12
	v_add_f16_e64 v12, v128, v124
	v_pk_fma_f16 v81, 0x2fb7b9fd, v42, v97 op_sel:[0,0,1] op_sel_hi:[1,1,0] neg_lo:[0,0,1] neg_hi:[0,0,1]
	v_mul_f16_e32 v100, 0x33a8, v82
	v_add_f16_e64 v128, v98, v13
	v_add_f16_e32 v13, v86, v18
	v_lshrrev_b32_e32 v18, 16, v95
	v_add_f16_e32 v86, v87, v14
	v_mul_f16_e32 v14, 0x3bf1, v115
	v_add_f16_e32 v85, v105, v85
	v_fmac_f16_e32 v121, 0x2fb7, v95
	v_fmac_f16_e32 v125, 0x388b, v95
	v_fmamk_f16 v104, v94, 0xb5ac, v43
	v_fma_f16 v117, v94, 0x2fb7, -v118
	v_add_f16_e64 v88, v129, v88
	v_add_f16_e64 v90, v130, v90
	v_fmamk_f16 v119, v101, 0x2fb7, v122
	v_fmac_f16_e32 v118, 0x2fb7, v94
	v_fma_f16 v122, v101, 0x2fb7, -v122
	v_fma_f16 v124, v94, 0xbbc4, -v108
	v_pk_add_f16 v81, v81, v102
	v_fmamk_f16 v102, v101, 0xbbc4, v100
	v_mul_f16_e64 v129, 0x3a95, v82
	v_fma_f16 v130, v101, 0xbbc4, -v100
	v_add_f16_e32 v107, v107, v99
	v_mul_f16_e32 v99, 0xba95, v115
	v_add_f16_e32 v15, v109, v15
	v_fmamk_f16 v105, v18, 0x2fb7, v14
	v_fma_f16 v109, v18, 0x2fb7, -v14
	v_mul_f16_e32 v14, 0x33a8, v115
	v_add_f16_e32 v13, v121, v13
	v_add_f16_e32 v85, v125, v85
	v_fmac_f16_e32 v106, 0x3b15, v96
	v_fmac_f16_e32 v112, 0xb9fd, v96
	v_pk_mul_f16 v100, 0x3a95bb7b, v82
	v_add_f16_e64 v91, v131, v91
	v_add_f16_e32 v104, v104, v110
	v_mul_f16_e32 v110, 0x388b, v101
	v_fma_f16 v101, v101, 0x388b, -v129
	v_add_f16_e32 v84, v116, v84
	v_add_f16_e32 v103, v117, v103
	v_fmamk_f16 v116, v18, 0x388b, v99
	v_mul_f16_e32 v117, 0x33a8, v120
	v_add_f16_e32 v89, v118, v89
	v_fma_f16 v118, v18, 0x388b, -v99
	v_add_f16_e32 v88, v122, v88
	v_add_f16_e32 v122, v124, v127
	v_fmamk_f16 v124, v18, 0xbbc4, v14
	v_add_f16_e32 v90, v102, v90
	v_mul_f16_e32 v99, 0x3770, v115
	v_fma_f16 v102, v18, 0xbbc4, -v14
	v_add_f16_e32 v14, v106, v13
	v_add_f16_e32 v13, v112, v85
	v_pk_fma_f16 v85, 0xb5ac388b, v94, v100 op_sel:[0,0,1] op_sel_hi:[1,1,0] neg_lo:[0,0,1] neg_hi:[0,0,1]
	v_pk_add_f16 v16, v25, v26
	v_fmac_f16_e32 v108, 0xbbc4, v94
	v_mul_f16_e32 v98, 0xb94e, v120
	v_add_f16_e32 v83, v119, v83
	v_fma_f16 v119, v95, 0xbbc4, -v117
	v_mul_f16_e32 v120, 0x3770, v120
	v_fma_f16 v127, v18, 0x3b15, -v99
	v_add_f16_e64 v91, v130, v91
	v_pk_add_f16 v81, v85, v81
	v_lshrrev_b32_e32 v112, 16, v96
	v_add_f16_e64 v85, v101, v128
	v_add_f16_e64 v128, v105, v107
	v_mul_f16_e32 v105, 0xb94e, v123
	v_fmamk_f16 v87, v95, 0xb9fd, v98
	v_fma_f16 v121, v95, 0x3b15, -v120
	v_fmamk_f16 v125, v18, 0x3b15, v99
	v_fmac_f16_e32 v120, 0x3b15, v95
	v_add_f16_e32 v82, v108, v111
	v_mul_f16_e32 v99, 0xb3a8, v126
	v_add_f16_e32 v84, v116, v84
	v_fmamk_f16 v116, v112, 0xb9fd, v105
	v_add_f16_e32 v119, v119, v103
	v_mul_f16_e32 v103, 0x3a95, v123
	v_fma_f16 v130, v112, 0xb9fd, -v105
	v_pk_mul_f16 v105, 0xbb7bb94e, v115
	v_add_f16_e32 v91, v127, v91
	v_pk_fma_f16 v127, 0x3b15bbc4, v37, v44 op_sel:[0,0,1] op_sel_hi:[1,1,0]
	v_pk_add_f16 v16, v16, v31
	v_add_f16_e32 v87, v87, v104
	v_fmamk_f16 v104, v96, 0xbbc4, v99
	v_fma_f16 v133, v112, 0x388b, -v103
	v_add_f16_e32 v88, v102, v88
	v_add_f16_e32 v120, v120, v82
	v_pk_fma_f16 v82, 0xb9fdb5ac, v95, v105 op_sel:[0,0,1] op_sel_hi:[1,1,0] neg_lo:[0,0,1] neg_hi:[0,0,1]
	v_pk_mul_f16 v107, 0x388b3b15, v40
	v_pk_mul_f16 v106, 0x2fb7b9fd, v42
	v_pack_b32_f16 v114, v114, v127
	v_perm_b32 v113, v0, v113, 0x5040100
	v_pk_add_f16 v16, v16, v32
	v_fmac_f16_e32 v117, 0xbbc4, v95
	v_mul_f16_e32 v108, 0xbb7b, v115
	v_add_f16_e32 v15, v118, v15
	v_mul_f16_e32 v118, 0x3a95, v126
	v_add_f16_e32 v124, v124, v83
	v_mul_f16_e32 v83, 0xbb7b, v123
	v_pk_add_f16 v134, v82, v81
	v_add_f16_e32 v81, v104, v87
	v_add_f16_e32 v84, v116, v84
	v_pack_b32_f16 v17, v17, v107
	v_perm_b32 v116, v80, v0, 0x7060302
	v_add_f16_e64 v87, v133, v88
	v_pk_add_f16 v88, v114, v113
	v_pack_b32_f16 v92, v92, v106
	v_bfi_b32 v113, 0xffff, v132, v97
	v_pk_add_f16 v114, v16, v27
	v_mul_f16_e32 v111, 0xb5ac, v18
	v_fma_f16 v18, v18, 0xb5ac, -v108
	v_fma_f16 v131, v96, 0x388b, -v118
	v_add_f16_e32 v89, v117, v89
	v_fmac_f16_e32 v118, 0x388b, v96
	v_add_f16_e32 v121, v121, v122
	v_add_f16_e32 v90, v125, v90
	v_fmamk_f16 v122, v112, 0xb5ac, v83
	v_fma_f16 v125, v112, 0xb5ac, -v83
	v_pk_add_f16 v17, v17, v116
	v_pk_add_f16 v92, v92, v113
	v_pk_add_f16 v113, v114, v28
	v_mul_f16_e32 v101, 0x3770, v123
	v_add_f16_e64 v135, v18, v85
	v_pk_mul_f16 v104, 0xb5ac388b, v94
	v_add_f16_e32 v18, v118, v89
	v_add_f16_e32 v89, v122, v90
	v_pk_add_f16 v90, v17, v88
	v_add_f16_e32 v88, v125, v91
	v_pk_add_f16 v91, v113, v23
	v_add_f16_e32 v86, v109, v86
	v_fmamk_f16 v109, v112, 0x3b15, v101
	v_fma_f16 v101, v112, 0x3b15, -v101
	v_fmamk_f16 v117, v112, 0x388b, v103
	v_mul_f16_e32 v126, 0xbb7b, v126
	v_pk_mul_f16 v103, 0xb9fdb5ac, v95
	v_pack_b32_f16 v114, v129, v104
	v_bfi_b32 v110, 0xffff, v110, v100
	v_pk_add_f16 v91, v91, v24
	v_fma_f16 v115, v96, 0xb5ac, -v126
	v_pk_mul_f16 v102, 0x3bf1b3a8, v123
	v_add_f16_e32 v82, v101, v86
	v_pk_mul_f16 v101, 0xbbc42fb7, v96
	v_pk_add_f16 v90, v92, v90
	v_pk_add_f16 v92, v114, v110
	v_pack_b32_f16 v108, v108, v103
	v_bfi_b32 v110, 0xffff, v111, v105
	v_mul_f16_e32 v111, 0x2fb7, v112
	v_mul_f16_e32 v113, 0x3bf1, v123
	v_pk_add_f16 v91, v91, v29
	v_add_f16_e32 v16, v115, v121
	v_pk_add_f16 v90, v92, v90
	v_pk_add_f16 v92, v108, v110
	v_pk_add_f16 v114, v26, v93 neg_lo:[0,1] neg_hi:[0,1]
	v_pack_b32_f16 v108, v113, v101
	v_bfi_b32 v110, 0xffff, v111, v102
	v_pk_add_f16 v91, v91, v30
	v_pk_add_f16 v115, v93, v26
	v_add_f16_e64 v85, v109, v128
	v_pk_fma_f16 v109, 0xbbc42fb7, v96, v102 op_sel:[0,0,1] op_sel_hi:[1,1,0] neg_lo:[0,0,1] neg_hi:[0,0,1]
	v_pk_add_f16 v90, v92, v90
	v_lshrrev_b32_e32 v111, 16, v114
	v_pk_add_f16 v26, v108, v110
	v_pk_add_f16 v91, v91, v33
	v_pk_mul_f16 v110, 0x3b15388b, v115
	v_pk_add_f16 v92, v109, v134
	v_mul_f16_e32 v109, 0xb770, v111
	v_pk_add_f16 v90, v26, v90
	v_fma_f16 v26, v112, 0x2fb7, -v113
	v_pk_add_f16 v112, v91, v34
	v_pk_fma_f16 v108, 0xba95b770, v114, v110 op_sel:[0,0,1] op_sel_hi:[1,1,0] neg_lo:[0,1,0] neg_hi:[0,1,0]
	v_pk_fma_f16 v110, 0xba95b770, v114, v110 op_sel:[0,0,1] op_sel_hi:[1,1,0]
	v_fma_f16 v113, v115, 0x3b15, -v109
	v_add_f16_e64 v91, v26, v135
	v_pk_add_f16 v26, v112, v93
	v_mul_f16_e32 v118, 0xbbf1, v111
	v_bfi_b32 v93, 0xffff, v110, v108
	v_fmac_f16_e32 v126, 0xb5ac, v96
	v_add_f16_e64 v83, v130, v15
	v_add_f16_e64 v15, v131, v119
	v_add_f16_e32 v112, v25, v113
	v_lshrrev_b32_e32 v113, 16, v115
	v_pk_add_f16 v119, v25, v93 op_sel:[1,0] op_sel_hi:[0,1]
	v_pk_add_f16 v121, v25, v110 op_sel:[1,0] op_sel_hi:[0,1]
	v_fma_f16 v93, v115, 0x2fb7, -v118
	v_mul_f16_e32 v110, 0xbbf1, v114
	v_add_f16_e32 v86, v117, v124
	v_add_f16_e32 v17, v126, v120
	v_mul_f16_e32 v122, 0xbb7b, v111
	v_add_f16_e32 v124, v25, v93
	v_fmamk_f16 v125, v113, 0x2fb7, v110
	v_fma_f16 v126, v113, 0x2fb7, -v110
	v_mul_f16_e32 v111, 0xb94e, v111
	v_pk_add_f16 v93, v34, v31
	v_pk_add_f16 v31, v31, v34 neg_lo:[0,1] neg_hi:[0,1]
	v_pk_add_f16 v110, v29, v28
	v_pk_add_f16 v28, v28, v29 neg_lo:[0,1] neg_hi:[0,1]
	v_pk_mul_f16 v29, 0xbbc4, v115 op_sel_hi:[0,1]
	v_fmac_f16_e32 v109, 0x3b15, v115
	v_fmac_f16_e32 v118, 0x2fb7, v115
	v_fma_f16 v123, v115, 0xb5ac, -v122
	v_fmac_f16_e32 v122, 0xb5ac, v115
	v_fma_f16 v127, v115, 0xb9fd, -v111
	v_fmac_f16_e32 v111, 0xb9fd, v115
	v_pk_fma_f16 v115, 0xb3a8, v114, v29 op_sel:[0,0,1] op_sel_hi:[0,1,0] neg_lo:[0,1,0] neg_hi:[0,1,0]
	v_pk_fma_f16 v29, 0xb3a8, v114, v29 op_sel:[0,0,1] op_sel_hi:[0,1,0]
	v_lshrrev_b32_e32 v128, 16, v31
	v_mul_f16_e32 v116, 0xba95, v114
	v_add_f16_e32 v117, v25, v109
	v_lshrrev_b32_e32 v109, 16, v25
	v_add_f16_e32 v118, v25, v118
	v_add_f16_e32 v123, v25, v123
	v_pk_add_f16 v34, v33, v32
	v_pk_add_f16 v32, v32, v33 neg_lo:[0,1] neg_hi:[0,1]
	v_pk_add_f16 v33, v30, v27
	v_pk_add_f16 v27, v27, v30 neg_lo:[0,1] neg_hi:[0,1]
	v_mul_f16_e32 v30, 0xbb7b, v114
	v_add_f16_e32 v122, v25, v122
	v_add_f16_e32 v127, v25, v127
	v_mul_f16_e32 v114, 0xb94e, v114
	v_add_f16_e32 v111, v25, v111
	v_pk_add_f16 v115, v25, v115 op_sel:[1,0] op_sel_hi:[0,1]
	v_pk_add_f16 v25, v25, v29 op_sel:[1,0] op_sel_hi:[0,1]
	v_mul_f16_e64 v29, 0xba95, v128
	v_pk_mul_f16 v130, 0x388bb5ac, v93
	v_fmamk_f16 v120, v113, 0x388b, v116
	v_fma_f16 v116, v113, 0x388b, -v116
	v_fma_f16 v129, 0xb5ac, v113, v30
	v_fma_f16 v30, v113, 0xb5ac, -v30
	v_fma_f16 v131, 0xb9fd, v113, v114
	v_fma_f16 v132, v93, 0x388b, -v29
	v_fma_f16 v113, v113, 0xb9fd, -v114
	v_pk_fma_f16 v114, 0xbb7bba95, v31, v130 op_sel:[0,0,1] op_sel_hi:[1,1,0] neg_lo:[0,1,0] neg_hi:[0,1,0]
	v_pk_fma_f16 v130, 0xbb7bba95, v31, v130 op_sel:[0,0,1] op_sel_hi:[1,1,0]
	v_fmac_f16_e32 v29, 0x388b, v93
	v_add_f16_e64 v112, v132, v112
	v_lshrrev_b32_e32 v132, 16, v93
	v_mul_f16_e64 v133, 0xbb7b, v31
	v_bfi_b32 v134, 0xffff, v130, v114
	v_add_f16_e32 v29, v29, v117
	v_add_f16_e32 v117, v109, v120
	v_mul_f16_e64 v120, 0xb3a8, v128
	v_pk_add_f16 v121, v130, v121
	v_pk_add_f16 v119, v134, v119
	v_mul_f16_e64 v130, 0xb3a8, v31
	v_fma_f16 v135, 0xb5ac, v132, v133
	v_fma_f16 v134, v93, 0xbbc4, -v120
	v_fmac_f16_e32 v120, 0xbbc4, v93
	v_add_f16_e32 v116, v109, v116
	v_fma_f16 v133, v132, 0xb5ac, -v133
	v_add_f16_e32 v126, v109, v126
	v_add_f16_e64 v124, v134, v124
	v_fma_f16 v134, 0xbbc4, v132, v130
	v_fma_f16 v130, v132, 0xbbc4, -v130
	v_add_f16_e32 v118, v120, v118
	v_mul_f16_e32 v120, 0x394e, v31
	v_add_f16_e64 v116, v133, v116
	v_add_f16_e32 v125, v109, v125
	v_mul_f16_e64 v133, 0x394e, v128
	v_add_f16_e64 v126, v130, v126
	v_add_f16_e64 v129, v109, v129
	v_mul_f16_e64 v128, 0x3bf1, v128
	v_fma_f16 v130, 0xb9fd, v132, v120
	v_add_f16_e64 v117, v135, v117
	v_fma_f16 v135, v93, 0xb9fd, -v133
	v_add_f16_e64 v125, v134, v125
	v_fmac_f16_e64 v133, 0xb9fd, v93
	v_add_f16_e32 v30, v109, v30
	v_fma_f16 v120, v132, 0xb9fd, -v120
	v_fma_f16 v134, v93, 0x2fb7, -v128
	v_add_f16_e64 v129, v130, v129
	v_mul_f16_e64 v130, 0x3bf1, v31
	v_add_f16_e64 v122, v133, v122
	v_add_f16_e32 v30, v120, v30
	v_add_f16_e64 v120, v134, v127
	v_add_f16_e64 v127, v109, v131
	v_fma_f16 v131, 0x2fb7, v132, v130
	v_lshrrev_b32_e32 v133, 16, v32
	v_fmac_f16_e64 v128, 0x2fb7, v93
	v_fma_f16 v130, v132, 0x2fb7, -v130
	v_add_f16_e32 v113, v109, v113
	v_pk_mul_f16 v132, 0x2fb7bbc4, v34
	v_add_f16_e64 v127, v131, v127
	v_mul_f16_e64 v131, 0xbbf1, v133
	v_add_f16_e64 v111, v128, v111
	v_add_f16_e64 v113, v130, v113
	v_pk_fma_f16 v128, 0xb3a8bbf1, v32, v132 op_sel:[0,0,1] op_sel_hi:[1,1,0] neg_lo:[0,1,0] neg_hi:[0,1,0]
	v_pk_fma_f16 v130, 0xb3a8bbf1, v32, v132 op_sel:[0,0,1] op_sel_hi:[1,1,0]
	v_fma_f16 v132, v34, 0x2fb7, -v131
	v_add_f16_e64 v123, v135, v123
	v_lshrrev_b32_e32 v134, 16, v34
	v_mul_f16_e64 v135, 0xb3a8, v32
	v_fmac_f16_e64 v131, 0x2fb7, v34
	v_bfi_b32 v136, 0xffff, v130, v128
	v_add_f16_e64 v112, v132, v112
	v_mul_f16_e64 v132, 0x3b7b, v133
	v_fma_f16 v137, 0xbbc4, v134, v135
	v_add_f16_e64 v29, v131, v29
	v_pk_add_f16 v119, v136, v119
	v_fma_f16 v131, v134, 0xbbc4, -v135
	v_fma_f16 v135, v34, 0xb5ac, -v132
	v_mul_f16_e64 v136, 0x3b7b, v32
	v_pk_add_f16 v121, v130, v121
	v_mul_f16_e64 v130, 0x3770, v133
	v_add_f16_e64 v116, v131, v116
	v_add_f16_e64 v124, v135, v124
	v_fma_f16 v131, 0xb5ac, v134, v136
	v_mul_f16_e64 v135, 0x3770, v32
	v_fmac_f16_e64 v132, 0xb5ac, v34
	v_add_f16_e64 v117, v137, v117
	v_fma_f16 v136, v134, 0xb5ac, -v136
	v_add_f16_e64 v125, v131, v125
	v_fma_f16 v131, 0x3b15, v134, v135
	v_fma_f16 v137, v34, 0x3b15, -v130
	v_add_f16_e64 v118, v132, v118
	v_mul_f16_e64 v132, 0xba95, v133
	v_fmac_f16_e64 v130, 0x3b15, v34
	v_add_f16_e64 v129, v131, v129
	v_fma_f16 v131, v134, 0x3b15, -v135
	v_mul_f16_e64 v133, 0xba95, v32
	v_add_f16_e64 v126, v136, v126
	v_fma_f16 v135, v34, 0x388b, -v132
	v_add_f16_e64 v122, v130, v122
	v_lshrrev_b32_e32 v130, 16, v27
	v_add_f16_e64 v30, v131, v30
	v_fma_f16 v131, 0x388b, v134, v133
	v_pk_mul_f16 v136, 0xb5acb9fd, v33
	v_add_f16_e64 v120, v135, v120
	v_fmac_f16_e64 v132, 0x388b, v34
	v_mul_f16_e64 v135, 0xbb7b, v130
	v_add_f16_e64 v127, v131, v127
	v_fma_f16 v131, v134, 0x388b, -v133
	v_pk_fma_f16 v133, 0x394ebb7b, v27, v136 op_sel:[0,0,1] op_sel_hi:[1,1,0] neg_lo:[0,1,0] neg_hi:[0,1,0]
	v_pk_fma_f16 v134, 0x394ebb7b, v27, v136 op_sel:[0,0,1] op_sel_hi:[1,1,0]
	v_add_f16_e64 v123, v137, v123
	v_add_f16_e64 v111, v132, v111
	v_fma_f16 v132, v33, 0xb5ac, -v135
	v_lshrrev_b32_e32 v136, 16, v33
	v_mul_f16_e64 v137, 0x394e, v27
	v_add_f16_e64 v113, v131, v113
	v_bfi_b32 v131, 0xffff, v134, v133
	v_fmac_f16_e64 v135, 0xb5ac, v33
	v_add_f16_e64 v112, v132, v112
	v_fma_f16 v132, 0xb9fd, v136, v137
	v_mul_f16_e64 v138, 0x3770, v130
	v_pk_add_f16 v119, v131, v119
	v_fma_f16 v131, v136, 0xb9fd, -v137
	v_add_f16_e64 v29, v135, v29
	v_add_f16_e64 v117, v132, v117
	v_fma_f16 v132, v33, 0x3b15, -v138
	v_mul_f16_e64 v135, 0x3770, v27
	v_add_f16_e64 v116, v131, v116
	v_mul_f16_e64 v131, 0xbbf1, v130
	v_pk_add_f16 v121, v134, v121
	v_add_f16_e64 v124, v132, v124
	v_fma_f16 v132, 0x3b15, v136, v135
	v_fma_f16 v134, v136, 0x3b15, -v135
	v_fma_f16 v135, v33, 0x2fb7, -v131
	v_mul_f16_e64 v137, 0xbbf1, v27
	v_fmac_f16_e64 v131, 0x2fb7, v33
	v_fmac_f16_e64 v138, 0x3b15, v33
	v_add_f16_e64 v126, v134, v126
	v_add_f16_e64 v123, v135, v123
	v_fma_f16 v134, v136, 0x2fb7, -v137
	v_mul_f16_e64 v135, 0x33a8, v27
	v_add_f16_e64 v122, v131, v122
	v_add_f16_e64 v125, v132, v125
	;; [unrolled: 1-line block ×4, first 2 shown]
	v_fma_f16 v131, 0xbbc4, v136, v135
	v_lshrrev_b32_e32 v134, 16, v28
	v_fma_f16 v132, 0x2fb7, v136, v137
	v_fma_f16 v135, v136, 0xbbc4, -v135
	v_lshrrev_b32_e32 v137, 16, v110
	v_add_f16_e64 v127, v131, v127
	v_mul_f16_e64 v131, 0xb94e, v134
	v_mul_f16_e64 v138, 0x3bf1, v28
	;; [unrolled: 1-line block ×3, first 2 shown]
	v_add_f16_e64 v113, v135, v113
	v_add_f16_e64 v129, v132, v129
	v_fma_f16 v136, v110, 0xb9fd, -v131
	v_fmac_f16_e64 v131, 0xb9fd, v110
	v_fma_f16 v135, v137, 0x2fb7, -v138
	v_fma_f16 v132, v33, 0xbbc4, -v130
	v_fmac_f16_e64 v130, 0xbbc4, v33
	v_add_f16_e64 v112, v136, v112
	v_add_f16_e64 v29, v131, v29
	v_fma_f16 v131, 0x2fb7, v137, v138
	v_mul_f16_e64 v136, 0xba95, v134
	v_add_f16_e64 v116, v135, v116
	v_mul_f16_e64 v141, 0x33a8, v28
	v_add_f16_e32 v108, v109, v108
	v_add_f16_e64 v117, v131, v117
	v_mul_f16_e64 v131, 0x33a8, v134
	v_fma_f16 v135, v110, 0x388b, -v136
	v_fmac_f16_e64 v136, 0x388b, v110
	v_mul_f16_e64 v134, 0x3770, v134
	v_pk_add_f16 v109, v23, v24 neg_lo:[0,1] neg_hi:[0,1]
	v_fma_f16 v140, v110, 0xbbc4, -v131
	v_fmac_f16_e64 v131, 0xbbc4, v110
	v_add_f16_e64 v120, v132, v120
	v_pk_mul_f16 v132, 0xb9fd2fb7, v110
	v_add_f16_e64 v111, v130, v111
	v_add_f16_e64 v124, v135, v124
	;; [unrolled: 1-line block ×3, first 2 shown]
	v_fma_f16 v135, 0xbbc4, v137, v141
	v_mul_f16_e64 v136, 0x3770, v28
	v_add_f16_e64 v122, v131, v122
	v_fma_f16 v131, v110, 0x3b15, -v134
	v_add_f16_e32 v108, v114, v108
	v_lshrrev_b32_e32 v114, 16, v109
	v_fmac_f16_e64 v134, 0x3b15, v110
	v_pk_add_f16 v23, v24, v23
	v_pk_fma_f16 v130, 0x3bf1b94e, v28, v132 op_sel:[0,0,1] op_sel_hi:[1,1,0] neg_lo:[0,1,0] neg_hi:[0,1,0]
	v_pk_fma_f16 v132, 0x3bf1b94e, v28, v132 op_sel:[0,0,1] op_sel_hi:[1,1,0]
	v_add_f16_e64 v129, v135, v129
	v_fma_f16 v135, 0x3b15, v137, v136
	v_fma_f16 v24, v137, 0x3b15, -v136
	v_add_f16_e64 v108, v128, v108
	v_mul_f16_e64 v128, 0xb3a8, v114
	v_add_f16_e64 v111, v134, v111
	v_pk_mul_f16 v134, 0xbbc43b15, v23
	v_bfi_b32 v139, 0xffff, v132, v130
	v_add_f16_e64 v127, v135, v127
	v_add_f16_e32 v24, v24, v113
	v_add_f16_e64 v108, v133, v108
	v_fma_f16 v113, v23, 0xbbc4, -v128
	v_pk_fma_f16 v133, 0x3770b3a8, v109, v134 op_sel:[0,0,1] op_sel_hi:[1,1,0] neg_lo:[0,1,0] neg_hi:[0,1,0]
	v_pk_fma_f16 v135, 0x3770b3a8, v109, v134 op_sel:[0,0,1] op_sel_hi:[1,1,0]
	v_pk_add_f16 v119, v139, v119
	v_mul_f16_e64 v138, 0xba95, v28
	v_add_f16_e64 v108, v130, v108
	v_lshrrev_b32_e32 v130, 16, v23
	v_mul_f16_e64 v136, 0x3770, v109
	v_add_f16_e32 v112, v113, v112
	v_bfi_b32 v113, 0xffff, v135, v133
	v_fma_f16 v139, 0x388b, v137, v138
	v_fmac_f16_e64 v128, 0xbbc4, v23
	v_add_f16_e64 v108, v133, v108
	v_fma_f16 v133, v130, 0x3b15, -v136
	v_pk_add_f16 v119, v113, v119
	v_mul_f16_e32 v113, 0xb94e, v114
	v_add_f16_e64 v125, v139, v125
	v_fma_f16 v139, v137, 0xbbc4, -v141
	v_add_f16_e64 v120, v131, v120
	v_fma_f16 v131, v137, 0x388b, -v138
	v_add_f16_e64 v29, v128, v29
	v_fma_f16 v128, 0x3b15, v130, v136
	v_add_f16_e64 v116, v133, v116
	v_fma_f16 v133, v23, 0xb9fd, -v113
	v_fmac_f16_e32 v113, 0xb9fd, v23
	v_mul_f16_e64 v137, 0x3a95, v109
	v_add_f16_e64 v117, v128, v117
	v_mul_f16_e64 v128, 0x3a95, v114
	v_add_f16_e64 v30, v139, v30
	v_add_f16_e32 v118, v113, v118
	v_fma_f16 v113, 0x388b, v130, v137
	v_pk_mul_f16 v93, 0x3b15, v93 op_sel_hi:[0,1]
	v_fma_f16 v138, v23, 0x388b, -v128
	v_fmac_f16_e64 v128, 0x388b, v23
	v_pk_mul_f16 v34, 0xb9fd, v34 op_sel_hi:[0,1]
	v_add_f16_e64 v129, v113, v129
	v_fma_f16 v113, v130, 0x388b, -v137
	v_mul_f16_e64 v135, 0xb9fd, v130
	v_add_f16_e64 v122, v128, v122
	v_add_f16_e64 v124, v133, v124
	v_mul_f16_e32 v114, 0xbb7b, v114
	v_add_f16_e64 v128, v113, v30
	v_pk_fma_f16 v30, 0x3770, v31, v93 op_sel:[0,0,1] op_sel_hi:[0,1,0] neg_lo:[0,1,0] neg_hi:[0,1,0]
	v_pk_fma_f16 v31, 0x3770, v31, v93 op_sel:[0,0,1] op_sel_hi:[0,1,0]
	v_pk_fma_f16 v113, 0xb94e, v32, v34 op_sel:[0,0,1] op_sel_hi:[0,1,0] neg_lo:[0,1,0] neg_hi:[0,1,0]
	v_fma_f16 v136, 0xb94e, v109, v135
	v_mul_f16_e64 v133, 0xbb7b, v109
	v_pk_add_f16 v30, v30, v115
	v_pk_add_f16 v25, v31, v25
	v_pk_fma_f16 v31, 0xb94e, v32, v34 op_sel:[0,0,1] op_sel_hi:[0,1,0]
	v_pk_mul_f16 v32, 0x388b, v33 op_sel_hi:[0,1]
	v_mul_lo_u16 v34, v71, 13
	v_pk_add_f16 v33, v113, v30
	v_add_f16_e64 v125, v136, v125
	v_pk_add_f16 v25, v31, v25
	v_pk_fma_f16 v31, 0x3a95, v27, v32 op_sel:[0,0,1] op_sel_hi:[0,1,0] neg_lo:[0,1,0] neg_hi:[0,1,0]
	v_pk_fma_f16 v27, 0x3a95, v27, v32 op_sel:[0,0,1] op_sel_hi:[0,1,0]
	v_and_b32_e32 v32, 0xffff, v34
	v_pk_mul_f16 v34, 0xb5ac, v110 op_sel_hi:[0,1]
	v_fma_f16 v136, v23, 0xb5ac, -v114
	v_pk_add_f16 v31, v31, v33
	v_pk_add_f16 v25, v27, v25
	v_mul_f16_e32 v33, 0xb94e, v109
	v_pk_fma_f16 v27, 0xbb7b, v28, v34 op_sel:[0,0,1] op_sel_hi:[0,1,0] neg_lo:[0,1,0] neg_hi:[0,1,0]
	v_fma_f16 v137, 0xb5ac, v130, v133
	v_fmac_f16_e32 v114, 0xb5ac, v23
	v_fma_f16 v93, v130, 0xb5ac, -v133
	v_lshl_add_u32 v113, v32, 2, v79
	v_pk_mul_f16 v32, 0x3770b3a8, v109
	v_pk_fma_f16 v28, 0xbb7b, v28, v34 op_sel:[0,0,1] op_sel_hi:[0,1,0]
	v_pk_mul_f16 v23, 0x2fb7, v23 op_sel_hi:[0,1]
	v_pk_add_f16 v27, v27, v31
	v_bfi_b32 v31, 0xffff, v33, v121
	v_add_f16_e64 v120, v136, v120
	v_add_f16_e64 v127, v137, v127
	v_add_f16_e32 v24, v93, v24
	v_pk_add_f16 v25, v28, v25
	v_pk_fma_f16 v28, 0x3bf1, v109, v23 op_sel:[0,0,1] op_sel_hi:[0,1,0] neg_lo:[0,1,0] neg_hi:[0,1,0]
	v_pack_b32_f16 v33, v131, v134
	v_bfi_b32 v32, 0xffff, v126, v32
	v_pk_add_f16 v31, v135, v31 neg_lo:[0,1] neg_hi:[0,1]
	v_pk_add_f16 v93, v132, v121
	v_add_f16_e64 v123, v140, v123
	v_pk_fma_f16 v23, 0x3bf1, v109, v23 op_sel:[0,0,1] op_sel_hi:[0,1,0]
	v_pack_b32_f16 v109, v120, v127
	v_pk_add_f16 v27, v28, v27
	v_pk_add_f16 v28, v33, v32
	v_bfi_b32 v31, 0xffff, v31, v93
	v_add_co_u32 v30, null, v71, 13
	v_add_f16_e64 v123, v138, v123
	v_pk_add_f16 v23, v23, v25
	v_add_f16_e32 v111, v114, v111
	global_wb scope:SCOPE_SE
	s_wait_kmcnt 0x0
	s_barrier_signal -1
	s_barrier_wait -1
	global_inv scope:SCOPE_SE
	ds_store_2addr_b32 v113, v26, v109 offset1:5
	v_pk_add_f16 v26, v31, v28
	v_alignbit_b32 v34, v117, v119, 16
	v_pack_b32_f16 v110, v112, v119
	v_mul_u32_u24_e32 v93, 13, v30
	v_pack_b32_f16 v25, v123, v129
	v_pack_b32_f16 v32, v124, v125
	v_alignbit_b32 v28, v27, v23, 16
	v_alignbit_b32 v23, v23, v27, 16
	v_pack_b32_f16 v27, v122, v128
	v_pack_b32_f16 v24, v111, v24
	v_alignbit_b32 v31, v116, v26, 16
	v_pack_b32_f16 v26, v118, v26
	v_pack_b32_f16 v29, v29, v108
	ds_store_2addr_b32 v113, v110, v34 offset0:1 offset1:2
	ds_store_2addr_b32 v113, v32, v25 offset0:3 offset1:4
	;; [unrolled: 1-line block ×5, first 2 shown]
	ds_store_b32 v113, v29 offset:48
	s_and_saveexec_b32 s0, vcc_lo
	s_cbranch_execz .LBB0_7
; %bb.6:
	v_pk_add_f16 v1, v1, v0
	v_pk_mul_f16 v29, 0x3b15bbc4, v37
	v_mul_f16_e32 v23, 0x3b15, v37
	v_alignbit_b32 v31, v44, v44, 16
	v_mul_f16_e32 v24, 0x388b, v40
	v_pk_add_f16 v1, v21, v1
	v_bfi_b32 v33, 0xffff, v38, v29
	v_alignbit_b32 v21, v80, v80, 16
	v_pk_add_f16 v29, v31, v29
	v_mul_f16_e32 v25, 0x2fb7, v42
	v_pk_add_f16 v1, v22, v1
	v_bfi_b32 v22, 0xffff, v39, v107
	v_pk_add_f16 v23, v23, v33 neg_lo:[0,1] neg_hi:[0,1]
	v_alignbit_b32 v32, v97, v97, 16
	v_pk_add_f16 v21, v21, v107
	v_pk_add_f16 v1, v19, v1
	v_pk_add_f16 v19, v24, v22 neg_lo:[0,1] neg_hi:[0,1]
	v_bfi_b32 v22, 0xffff, v41, v106
	v_bfi_b32 v23, 0xffff, v23, v29
	v_mul_f16_e32 v26, 0xb5ac, v94
	v_pk_add_f16 v1, v20, v1
	v_alignbit_b32 v34, v100, v100, 16
	v_bfi_b32 v20, 0xffff, v43, v104
	v_bfi_b32 v19, 0xffff, v19, v21
	v_pk_add_f16 v21, v25, v22 neg_lo:[0,1] neg_hi:[0,1]
	v_pk_add_f16 v1, v6, v1
	v_pk_add_f16 v22, v32, v106
	;; [unrolled: 1-line block ×3, first 2 shown]
	v_mul_f16_e32 v27, 0xb9fd, v95
	v_alignbit_b32 v37, v105, v105, 16
	v_pk_add_f16 v1, v7, v1
	v_pk_add_f16 v6, v26, v20 neg_lo:[0,1] neg_hi:[0,1]
	v_pk_add_f16 v20, v34, v104
	v_bfi_b32 v23, 0xffff, v98, v103
	v_bfi_b32 v7, 0xffff, v21, v22
	v_pk_add_f16 v0, v19, v0
	v_pk_add_f16 v1, v4, v1
	v_mul_f16_e32 v28, 0xbbc4, v96
	v_bfi_b32 v6, 0xffff, v6, v20
	v_pk_add_f16 v19, v27, v23 neg_lo:[0,1] neg_hi:[0,1]
	v_pk_add_f16 v4, v37, v103
	v_pk_add_f16 v0, v7, v0
	v_bfi_b32 v7, 0xffff, v99, v101
	v_alignbit_b32 v20, v102, v102, 16
	v_pk_add_f16 v1, v5, v1
	v_bfi_b32 v4, 0xffff, v19, v4
	v_pk_add_f16 v0, v6, v0
	v_pk_add_f16 v5, v28, v7 neg_lo:[0,1] neg_hi:[0,1]
	v_pk_add_f16 v6, v20, v101
	v_pk_add_f16 v1, v2, v1
	v_perm_b32 v7, v90, v92, 0x5040100
	v_pk_add_f16 v0, v4, v0
	v_perm_b32 v4, v85, v11, 0x5040100
	v_bfi_b32 v2, 0xffff, v5, v6
	v_pk_add_f16 v1, v3, v1
	v_lshl_add_u32 v3, v93, 2, v79
	v_perm_b32 v5, v89, v16, 0x5040100
	v_perm_b32 v6, v86, v15, 0x5040100
	v_pk_add_f16 v0, v2, v0
	v_pk_add_f16 v1, v36, v1
	v_perm_b32 v2, v84, v12, 0x5040100
	v_alignbit_b32 v19, v91, v90, 16
	v_perm_b32 v20, v87, v18, 0x5040100
	v_perm_b32 v21, v88, v17, 0x5040100
	;; [unrolled: 1-line block ×4, first 2 shown]
	v_bfi_b32 v24, 0xffff, v81, v92
	ds_store_2addr_b32 v3, v1, v0 offset1:1
	ds_store_2addr_b32 v3, v4, v2 offset0:2 offset1:3
	ds_store_2addr_b32 v3, v6, v5 offset0:4 offset1:5
	ds_store_2addr_b32 v3, v7, v19 offset0:6 offset1:7
	ds_store_2addr_b32 v3, v21, v20 offset0:8 offset1:9
	ds_store_2addr_b32 v3, v23, v22 offset0:10 offset1:11
	ds_store_b32 v3, v24 offset:48
.LBB0_7:
	s_wait_alu 0xfffe
	s_or_b32 exec_lo, exec_lo, s0
	v_add_co_u32 v38, null, v71, 26
	v_lshlrev_b32_e32 v34, 4, v71
	global_wb scope:SCOPE_SE
	s_wait_dscnt 0x0
	s_barrier_signal -1
	v_and_b32_e32 v4, 0xff, v38
	s_barrier_wait -1
	global_inv scope:SCOPE_SE
	global_load_b128 v[0:3], v34, s[2:3]
	v_lshlrev_b32_e32 v29, 3, v71
	v_mul_lo_u16 v4, 0x4f, v4
	v_lshlrev_b32_e32 v41, 3, v38
	v_lshlrev_b32_e32 v30, 3, v30
	s_delay_alu instid0(VALU_DEP_3) | instskip(NEXT) | instid1(VALU_DEP_1)
	v_lshrrev_b16 v4, 10, v4
	v_mul_lo_u16 v4, v4, 13
	s_delay_alu instid0(VALU_DEP_1) | instskip(NEXT) | instid1(VALU_DEP_1)
	v_sub_nc_u16 v40, v38, v4
	v_lshlrev_b16 v4, 2, v40
	v_and_b32_e32 v40, 0xff, v40
	s_delay_alu instid0(VALU_DEP_2) | instskip(NEXT) | instid1(VALU_DEP_2)
	v_and_b32_e32 v4, 0xfc, v4
	v_lshl_add_u32 v94, v40, 2, v79
	s_delay_alu instid0(VALU_DEP_2)
	v_lshlrev_b32_e32 v4, 2, v4
	global_load_b128 v[4:7], v4, s[2:3]
	ds_load_2addr_b32 v[27:28], v46 offset1:13
	ds_load_2addr_b32 v[19:20], v46 offset0:26 offset1:39
	ds_load_2addr_b32 v[32:33], v46 offset0:78 offset1:91
	;; [unrolled: 1-line block ×6, first 2 shown]
	ds_load_b32 v31, v46 offset:728
	v_add_co_u32 v34, s0, s2, v34
	s_wait_alu 0xf1ff
	v_add_co_ci_u32_e64 v39, null, s3, 0, s0
	global_wb scope:SCOPE_SE
	s_wait_loadcnt_dscnt 0x0
	v_sub_co_u32 v38, s0, v34, v29
	s_barrier_signal -1
	s_barrier_wait -1
	global_inv scope:SCOPE_SE
	s_wait_alu 0xf1ff
	v_subrev_co_ci_u32_e64 v39, s0, 0, v39, s0
	s_add_nc_u64 s[0:1], s[12:13], 0x30c
	v_lshrrev_b32_e32 v34, 16, v27
	v_lshrrev_b32_e32 v42, 16, v20
	;; [unrolled: 1-line block ×19, first 2 shown]
	s_delay_alu instid0(VALU_DEP_4)
	v_mul_f16_e32 v40, v42, v108
	v_mul_f16_e32 v109, v20, v108
	;; [unrolled: 1-line block ×16, first 2 shown]
	v_fma_f16 v20, v20, v0, -v40
	v_fmac_f16_e32 v109, v42, v0
	v_fma_f16 v32, v32, v1, -v110
	v_fmac_f16_e32 v111, v43, v1
	;; [unrolled: 2-line block ×8, first 2 shown]
	v_add_f16_e32 v40, v27, v20
	v_add_f16_e32 v42, v32, v22
	v_sub_f16_e32 v80, v20, v32
	v_sub_f16_e32 v96, v36, v22
	v_add_f16_e32 v97, v20, v36
	v_sub_f16_e32 v98, v32, v20
	v_sub_f16_e32 v99, v22, v36
	v_add_f16_e32 v110, v34, v109
	v_add_f16_e32 v112, v111, v114
	v_sub_f16_e32 v117, v109, v111
	v_sub_f16_e32 v119, v116, v114
	v_add_f16_e32 v125, v28, v25
	v_add_f16_e32 v126, v33, v23
	v_add_f16_e64 v131, v25, v37
	v_add_f16_e64 v134, v95, v118
	v_add_f16_e64 v135, v120, v122
	v_add_f16_e64 v139, v118, v124
	v_add_f16_e32 v121, v109, v116
	v_sub_f16_e32 v43, v109, v116
	v_sub_f16_e32 v44, v111, v114
	;; [unrolled: 1-line block ×7, first 2 shown]
	v_sub_f16_e64 v128, v120, v122
	v_sub_f16_e64 v129, v25, v33
	v_sub_f16_e64 v132, v33, v25
	v_sub_f16_e32 v25, v25, v37
	v_sub_f16_e64 v136, v33, v23
	v_add_f16_e32 v32, v40, v32
	v_fma_f16 v40, -0.5, v42, v27
	v_add_f16_e32 v42, v80, v96
	v_fma_f16 v27, -0.5, v97, v27
	v_add_f16_e32 v80, v98, v99
	v_add_f16_e32 v96, v110, v111
	v_fma_f16 v97, -0.5, v112, v34
	v_add_f16_e32 v98, v117, v119
	v_add_f16_e32 v33, v125, v33
	v_fma_f16 v117, -0.5, v126, v28
	v_fmac_f16_e64 v28, -0.5, v131
	v_add_f16_e64 v111, v134, v120
	v_fma_f16 v119, -0.5, v135, v95
	v_fmac_f16_e64 v95, -0.5, v139
	v_fmac_f16_e32 v34, -0.5, v121
	v_sub_f16_e64 v130, v37, v23
	v_sub_f16_e64 v133, v23, v37
	v_sub_f16_e64 v137, v118, v120
	v_sub_f16_e64 v138, v124, v122
	v_sub_f16_e32 v118, v120, v118
	v_sub_f16_e64 v140, v122, v124
	v_add_f16_e32 v99, v109, v123
	v_add_f16_e32 v22, v32, v22
	v_fmamk_f16 v32, v43, 0x3b9c, v40
	v_add_f16_e32 v96, v96, v114
	v_fmamk_f16 v114, v20, 0xbb9c, v97
	;; [unrolled: 2-line block ×3, first 2 shown]
	v_fmac_f16_e32 v117, 0xbb9c, v127
	v_fma_f16 v123, 0xbb9c, v128, v28
	v_fmac_f16_e64 v28, 0x3b9c, v128
	v_add_f16_e32 v111, v111, v122
	v_fmamk_f16 v122, v25, 0xbb9c, v119
	v_fmac_f16_e32 v119, 0x3b9c, v25
	v_fma_f16 v125, 0x3b9c, v136, v95
	v_fmac_f16_e64 v95, 0xbb9c, v136
	v_fmac_f16_e32 v40, 0xbb9c, v43
	v_fmamk_f16 v120, v44, 0xbb9c, v27
	v_fmac_f16_e32 v27, 0x3b9c, v44
	v_fmac_f16_e32 v97, 0x3b9c, v20
	v_fmamk_f16 v121, v115, 0x3b9c, v34
	v_fmac_f16_e32 v34, 0xbb9c, v115
	v_add_f16_e64 v109, v129, v130
	v_add_f16_e64 v110, v132, v133
	;; [unrolled: 1-line block ×4, first 2 shown]
	v_fmac_f16_e32 v32, 0x38b4, v44
	v_fmac_f16_e32 v114, 0xb8b4, v115
	v_fmac_f16_e64 v33, 0x38b4, v128
	v_fmac_f16_e64 v117, 0xb8b4, v128
	v_fmac_f16_e32 v123, 0x38b4, v127
	v_fmac_f16_e32 v28, 0xb8b4, v127
	v_fmac_f16_e64 v122, 0xb8b4, v136
	v_fmac_f16_e64 v119, 0x38b4, v136
	v_fmac_f16_e32 v95, 0x38b4, v25
	v_fmac_f16_e32 v40, 0xb8b4, v44
	;; [unrolled: 1-line block ×7, first 2 shown]
	v_add_f16_e32 v22, v22, v36
	v_add_f16_e32 v36, v96, v116
	;; [unrolled: 1-line block ×4, first 2 shown]
	v_fmac_f16_e32 v32, 0x34f2, v42
	v_fmac_f16_e32 v114, 0x34f2, v98
	;; [unrolled: 1-line block ×9, first 2 shown]
	v_lshrrev_b32_e32 v112, 16, v4
	v_lshrrev_b32_e32 v111, 16, v5
	;; [unrolled: 1-line block ×4, first 2 shown]
	v_fmac_f16_e32 v40, 0x34f2, v42
	v_fmac_f16_e32 v120, 0x34f2, v80
	;; [unrolled: 1-line block ×6, first 2 shown]
	v_pack_b32_f16 v22, v22, v36
	v_pack_b32_f16 v20, v20, v23
	;; [unrolled: 1-line block ×4, first 2 shown]
	v_mul_f16_e32 v37, v101, v112
	v_mul_f16_e32 v42, v102, v111
	;; [unrolled: 1-line block ×6, first 2 shown]
	v_fmac_f16_e32 v125, 0xb8b4, v25
	v_pack_b32_f16 v25, v120, v121
	v_pack_b32_f16 v27, v27, v34
	;; [unrolled: 1-line block ×3, first 2 shown]
	v_mul_f16_e32 v40, v26, v112
	v_mul_f16_e32 v96, v31, v109
	ds_store_2addr_b32 v46, v22, v23 offset1:13
	ds_store_2addr_b32 v46, v25, v27 offset0:26 offset1:39
	ds_store_2addr_b32 v46, v32, v20 offset0:52 offset1:65
	v_fma_f16 v20, v26, v4, -v37
	v_fma_f16 v21, v21, v5, -v42
	v_fmac_f16_e32 v43, v102, v5
	v_fma_f16 v22, v24, v6, -v44
	v_fmac_f16_e32 v80, v103, v6
	;; [unrolled: 2-line block ×3, first 2 shown]
	v_fmac_f16_e32 v96, v104, v7
	v_add_f16_e32 v24, v19, v20
	v_add_f16_e32 v25, v21, v22
	;; [unrolled: 1-line block ×4, first 2 shown]
	v_sub_f16_e32 v31, v20, v21
	v_sub_f16_e32 v32, v23, v22
	v_add_f16_e32 v95, v100, v40
	v_add_f16_e32 v102, v40, v96
	v_sub_f16_e32 v26, v40, v96
	v_sub_f16_e32 v42, v21, v20
	;; [unrolled: 1-line block ×5, first 2 shown]
	v_add_f16_e32 v21, v24, v21
	v_fma_f16 v24, -0.5, v25, v19
	v_fmac_f16_e32 v19, -0.5, v37
	v_fma_f16 v37, -0.5, v97, v100
	v_sub_f16_e32 v27, v43, v80
	v_add_f16_e32 v25, v31, v32
	v_add_f16_e32 v32, v95, v43
	v_fmac_f16_e32 v100, -0.5, v102
	v_sub_f16_e32 v99, v40, v43
	v_sub_f16_e32 v101, v96, v80
	v_add_f16_e32 v31, v42, v44
	v_add_f16_e32 v21, v21, v22
	v_fmamk_f16 v22, v26, 0x3b9c, v24
	v_fmamk_f16 v44, v20, 0xbb9c, v37
	v_sub_f16_e32 v40, v43, v40
	v_sub_f16_e32 v103, v80, v96
	v_fmamk_f16 v43, v27, 0xbb9c, v19
	v_fmac_f16_e32 v19, 0x3b9c, v27
	v_add_f16_e32 v32, v32, v80
	v_fmamk_f16 v80, v98, 0x3b9c, v100
	v_fmac_f16_e32 v100, 0xbb9c, v98
	v_fmac_f16_e32 v24, 0xbb9c, v26
	;; [unrolled: 1-line block ×3, first 2 shown]
	v_add_f16_e32 v42, v99, v101
	v_fmac_f16_e32 v22, 0x38b4, v27
	v_fmac_f16_e32 v44, 0xb8b4, v98
	v_add_f16_e32 v40, v40, v103
	v_fmac_f16_e32 v43, 0x38b4, v26
	v_fmac_f16_e32 v19, 0xb8b4, v26
	;; [unrolled: 1-line block ×7, first 2 shown]
	v_add_f16_e32 v21, v21, v23
	v_add_f16_e32 v23, v32, v96
	v_fmac_f16_e32 v22, 0x34f2, v25
	v_fmac_f16_e32 v44, 0x34f2, v42
	v_fmac_f16_e32 v43, 0x34f2, v31
	v_fmac_f16_e32 v19, 0x34f2, v31
	v_fmac_f16_e32 v80, 0x34f2, v40
	v_fmac_f16_e32 v100, 0x34f2, v40
	v_fmac_f16_e32 v24, 0x34f2, v25
	v_fmac_f16_e32 v37, 0x34f2, v42
	v_pack_b32_f16 v33, v33, v122
	v_pack_b32_f16 v34, v123, v125
	;; [unrolled: 1-line block ×8, first 2 shown]
	ds_store_2addr_b32 v46, v33, v34 offset0:78 offset1:91
	ds_store_2addr_b32 v46, v28, v36 offset0:104 offset1:117
	;; [unrolled: 1-line block ×4, first 2 shown]
	ds_store_b32 v94, v23 offset:728
	v_add_nc_u32_e32 v19, 0x138, v29
	global_wb scope:SCOPE_SE
	s_wait_dscnt 0x0
	s_barrier_signal -1
	s_barrier_wait -1
	global_inv scope:SCOPE_SE
	s_clause 0x1
	global_load_b64 v[23:24], v[38:39], off offset:208
	global_load_b64 v[25:26], v30, s[2:3] offset:208
	v_add_nc_u32_e32 v20, 0x1a0, v29
	s_clause 0x2
	global_load_b64 v[27:28], v41, s[2:3] offset:208
	global_load_b64 v[21:22], v19, s[2:3] offset:208
	;; [unrolled: 1-line block ×3, first 2 shown]
	ds_load_2addr_b32 v[32:33], v46 offset1:13
	ds_load_2addr_b32 v[30:31], v46 offset0:52 offset1:65
	ds_load_2addr_b32 v[36:37], v46 offset0:130 offset1:143
	;; [unrolled: 1-line block ×6, first 2 shown]
	ds_load_b32 v29, v46 offset:728
	v_lshl_add_u32 v80, v71, 2, v79
	s_wait_dscnt 0x7
	v_lshrrev_b32_e32 v34, 16, v32
	s_wait_dscnt 0x6
	v_lshrrev_b32_e32 v44, 16, v31
	;; [unrolled: 2-line block ×4, first 2 shown]
	v_lshrrev_b32_e32 v120, 16, v37
	v_lshrrev_b32_e32 v122, 16, v39
	s_wait_dscnt 0x2
	v_lshrrev_b32_e32 v123, 16, v42
	s_wait_dscnt 0x1
	v_lshrrev_b32_e32 v125, 16, v116
	v_lshrrev_b32_e32 v126, 16, v43
	;; [unrolled: 1-line block ×3, first 2 shown]
	s_wait_dscnt 0x0
	v_lshrrev_b32_e32 v128, 16, v29
	v_lshrrev_b32_e32 v118, 16, v33
	;; [unrolled: 1-line block ×5, first 2 shown]
	s_wait_loadcnt 0x4
	v_lshrrev_b32_e32 v104, 16, v23
	v_lshrrev_b32_e32 v103, 16, v24
	s_wait_loadcnt 0x3
	v_lshrrev_b32_e32 v102, 16, v25
	v_lshrrev_b32_e32 v101, 16, v26
	;; [unrolled: 3-line block ×5, first 2 shown]
	v_mul_f16_e64 v129, v44, v104
	v_mul_f16_e64 v130, v31, v104
	;; [unrolled: 1-line block ×20, first 2 shown]
	v_fma_f16 v31, v31, v23, -v129
	v_fmac_f16_e64 v130, v44, v23
	v_fma_f16 v36, v36, v24, -v131
	v_fmac_f16_e64 v132, v114, v24
	;; [unrolled: 2-line block ×10, first 2 shown]
	v_add_f16_e32 v116, v32, v31
	v_add_f16_e32 v117, v31, v36
	v_add_f16_e64 v120, v34, v130
	v_add_f16_e64 v122, v130, v132
	v_add_f16_e32 v125, v38, v37
	v_add_f16_e64 v128, v134, v136
	v_sub_f16_e64 v119, v130, v132
	v_sub_f16_e64 v126, v134, v136
	v_add_f16_e64 v127, v118, v134
	v_add_f16_e64 v130, v39, v42
	;; [unrolled: 1-line block ×5, first 2 shown]
	v_add_f16_e32 v123, v33, v38
	v_add_f16_e64 v129, v40, v39
	v_add_f16_e64 v133, v121, v138
	v_add_f16_e64 v143, v114, v29
	v_sub_f16_e64 v145, v146, v148
	v_add_f16_e64 v147, v115, v146
	v_add_f16_e64 v146, v146, v148
	v_sub_f16_e32 v31, v31, v36
	v_sub_f16_e32 v38, v38, v37
	v_sub_f16_e64 v131, v138, v140
	v_add_f16_e64 v135, v41, v44
	v_sub_f16_e64 v138, v142, v144
	v_add_f16_e64 v139, v124, v142
	v_add_f16_e64 v142, v30, v114
	v_add_f16_e32 v36, v116, v36
	v_fma_f16 v32, -0.5, v117, v32
	v_add_f16_e64 v116, v120, v132
	v_fmac_f16_e32 v34, -0.5, v122
	v_fmac_f16_e32 v33, -0.5, v125
	v_fmac_f16_e64 v118, -0.5, v128
	v_sub_f16_e32 v39, v39, v42
	v_sub_f16_e32 v44, v44, v43
	v_fma_f16 v40, -0.5, v130, v40
	v_fmac_f16_e64 v121, -0.5, v134
	v_fmac_f16_e64 v41, -0.5, v137
	v_fmac_f16_e64 v124, -0.5, v141
	v_add_f16_e32 v37, v123, v37
	v_add_f16_e64 v117, v127, v136
	v_add_f16_e64 v42, v129, v42
	;; [unrolled: 1-line block ×3, first 2 shown]
	v_sub_f16_e64 v149, v114, v29
	v_fmac_f16_e64 v30, -0.5, v143
	v_fmac_f16_e64 v115, -0.5, v146
	v_add_f16_e64 v43, v135, v43
	v_add_f16_e64 v122, v139, v144
	;; [unrolled: 1-line block ×4, first 2 shown]
	v_fmamk_f16 v127, v119, 0x3aee, v32
	v_fmac_f16_e32 v32, 0xbaee, v119
	v_fmamk_f16 v119, v31, 0xbaee, v34
	v_fmac_f16_e32 v34, 0x3aee, v31
	;; [unrolled: 2-line block ×3, first 2 shown]
	v_fmamk_f16 v126, v38, 0xbaee, v118
	v_pack_b32_f16 v36, v36, v116
	v_fmac_f16_e32 v118, 0x3aee, v38
	v_fma_f16 v38, 0x3aee, v131, v40
	v_fma_f16 v128, 0xbaee, v39, v121
	v_fmac_f16_e32 v121, 0x3aee, v39
	v_fma_f16 v39, 0x3aee, v138, v41
	v_fma_f16 v129, 0xbaee, v44, v124
	v_fmac_f16_e64 v40, 0xbaee, v131
	v_fmac_f16_e64 v41, 0xbaee, v138
	v_fmac_f16_e32 v124, 0x3aee, v44
	v_pack_b32_f16 v37, v37, v117
	v_pack_b32_f16 v42, v42, v120
	v_fma_f16 v29, 0x3aee, v145, v30
	v_fmac_f16_e64 v30, 0xbaee, v145
	v_fma_f16 v114, 0xbaee, v149, v115
	v_fmac_f16_e64 v115, 0x3aee, v149
	v_pack_b32_f16 v43, v43, v122
	v_pack_b32_f16 v44, v123, v125
	ds_store_b32 v46, v36
	v_pack_b32_f16 v36, v127, v119
	v_pack_b32_f16 v31, v31, v126
	;; [unrolled: 1-line block ×6, first 2 shown]
	ds_store_2addr_b32 v80, v37, v42 offset0:13 offset1:26
	v_pack_b32_f16 v37, v40, v121
	v_pack_b32_f16 v39, v41, v124
	;; [unrolled: 1-line block ×4, first 2 shown]
	ds_store_2addr_b32 v80, v43, v44 offset0:39 offset1:52
	ds_store_2addr_b32 v80, v36, v31 offset0:65 offset1:78
	ds_store_2addr_b32 v80, v32, v33 offset0:130 offset1:143
	ds_store_2addr_b32 v80, v34, v38 offset0:91 offset1:104
	ds_store_2addr_b32 v80, v37, v39 offset0:156 offset1:169
	ds_store_2addr_b32 v46, v40, v41 offset0:117 offset1:182
	global_wb scope:SCOPE_SE
	s_wait_dscnt 0x0
	s_barrier_signal -1
	s_barrier_wait -1
	global_inv scope:SCOPE_SE
	s_clause 0xc
	global_load_b32 v44, v[8:9], off offset:780
	global_load_b32 v116, v35, s[0:1] offset:60
	global_load_b32 v117, v35, s[0:1] offset:120
	;; [unrolled: 1-line block ×12, first 2 shown]
	ds_load_2addr_b32 v[31:32], v46 offset1:15
	ds_load_2addr_b32 v[33:34], v46 offset0:30 offset1:45
	ds_load_2addr_b32 v[36:37], v46 offset0:60 offset1:75
	;; [unrolled: 1-line block ×5, first 2 shown]
	ds_load_b32 v128, v46 offset:720
	s_wait_dscnt 0x6
	v_lshrrev_b32_e32 v129, 16, v31
	v_lshrrev_b32_e32 v130, 16, v32
	s_wait_dscnt 0x5
	v_lshrrev_b32_e32 v131, 16, v33
	v_lshrrev_b32_e32 v132, 16, v34
	;; [unrolled: 3-line block ×6, first 2 shown]
	s_wait_dscnt 0x0
	v_lshrrev_b32_e32 v141, 16, v128
	s_wait_loadcnt 0xc
	v_lshrrev_b32_e32 v142, 16, v44
	s_wait_loadcnt 0xb
	;; [unrolled: 2-line block ×13, first 2 shown]
	v_lshrrev_b32_e32 v154, 16, v127
	v_mul_f16_e64 v155, v129, v142
	v_mul_f16_e64 v142, v31, v142
	;; [unrolled: 1-line block ×26, first 2 shown]
	v_fma_f16 v31, v31, v44, -v155
	v_fmac_f16_e64 v142, v129, v44
	v_fma_f16 v32, v32, v116, -v156
	v_fmac_f16_e64 v143, v130, v116
	;; [unrolled: 2-line block ×13, first 2 shown]
	v_pack_b32_f16 v31, v31, v142
	v_pack_b32_f16 v32, v32, v143
	;; [unrolled: 1-line block ×13, first 2 shown]
	ds_store_2addr_b32 v46, v31, v32 offset1:15
	ds_store_2addr_b32 v46, v33, v34 offset0:30 offset1:45
	ds_store_2addr_b32 v46, v36, v37 offset0:60 offset1:75
	;; [unrolled: 1-line block ×5, first 2 shown]
	ds_store_b32 v46, v44 offset:720
	s_and_saveexec_b32 s2, vcc_lo
	s_cbranch_execz .LBB0_9
; %bb.8:
	s_wait_alu 0xfffe
	v_add_co_u32 v31, s0, s0, v35
	s_wait_alu 0xf1ff
	v_add_co_ci_u32_e64 v32, null, s1, 0, s0
	s_clause 0xc
	global_load_b32 v33, v[31:32], off offset:52
	global_load_b32 v43, v[31:32], off offset:112
	;; [unrolled: 1-line block ×13, first 2 shown]
	ds_load_b32 v31, v80 offset:52
	s_wait_dscnt 0x0
	v_lshrrev_b32_e32 v32, 16, v31
	s_wait_loadcnt 0xc
	v_lshrrev_b32_e32 v34, 16, v33
	s_wait_loadcnt 0xb
	;; [unrolled: 2-line block ×5, first 2 shown]
	v_lshrrev_b32_e32 v129, 16, v117
	v_mul_f16_e32 v35, v32, v34
	v_mul_f16_e32 v34, v31, v34
	s_wait_loadcnt 0x7
	v_lshrrev_b32_e32 v130, 16, v118
	s_wait_loadcnt 0x6
	v_lshrrev_b32_e32 v131, 16, v119
	;; [unrolled: 2-line block ×3, first 2 shown]
	v_fma_f16 v31, v31, v33, -v35
	v_fmac_f16_e32 v34, v32, v33
	s_wait_loadcnt 0x4
	v_lshrrev_b32_e32 v133, 16, v121
	s_wait_loadcnt 0x3
	v_lshrrev_b32_e32 v134, 16, v122
	s_wait_loadcnt 0x2
	v_lshrrev_b32_e32 v135, 16, v123
	s_wait_loadcnt 0x1
	v_lshrrev_b32_e32 v136, 16, v124
	v_pack_b32_f16 v31, v31, v34
	s_wait_loadcnt 0x0
	v_lshrrev_b32_e32 v137, 16, v125
	ds_store_b32 v80, v31 offset:52
	ds_load_2addr_b32 v[31:32], v46 offset0:28 offset1:43
	ds_load_2addr_b32 v[33:34], v46 offset0:58 offset1:73
	;; [unrolled: 1-line block ×6, first 2 shown]
	s_wait_dscnt 0x5
	v_lshrrev_b32_e32 v138, 16, v31
	v_lshrrev_b32_e32 v140, 16, v32
	s_wait_dscnt 0x4
	v_lshrrev_b32_e32 v142, 16, v33
	v_lshrrev_b32_e32 v144, 16, v34
	;; [unrolled: 3-line block ×5, first 2 shown]
	v_mul_f16_e64 v139, v31, v126
	v_mul_f16_e64 v141, v32, v127
	s_wait_dscnt 0x0
	v_lshrrev_b32_e32 v158, 16, v41
	v_lshrrev_b32_e32 v160, 16, v42
	v_mul_f16_e64 v126, v138, v126
	v_mul_f16_e64 v127, v140, v127
	;; [unrolled: 1-line block ×20, first 2 shown]
	v_fmac_f16_e64 v139, v138, v43
	v_fmac_f16_e64 v141, v140, v44
	v_mul_f16_e64 v136, v158, v136
	v_mul_f16_e64 v137, v160, v137
	v_fma_f16 v31, v31, v43, -v126
	v_fma_f16 v32, v32, v44, -v127
	v_fmac_f16_e64 v143, v142, v116
	v_fmac_f16_e64 v145, v144, v117
	v_fma_f16 v33, v33, v116, -v128
	v_fma_f16 v34, v34, v117, -v129
	v_fmac_f16_e64 v147, v146, v118
	v_fmac_f16_e64 v149, v148, v119
	;; [unrolled: 4-line block ×5, first 2 shown]
	v_fma_f16 v41, v41, v124, -v136
	v_fma_f16 v42, v42, v125, -v137
	v_pack_b32_f16 v31, v31, v139
	v_pack_b32_f16 v32, v32, v141
	;; [unrolled: 1-line block ×12, first 2 shown]
	ds_store_2addr_b32 v46, v31, v32 offset0:28 offset1:43
	ds_store_2addr_b32 v46, v33, v34 offset0:58 offset1:73
	;; [unrolled: 1-line block ×6, first 2 shown]
.LBB0_9:
	s_wait_alu 0xfffe
	s_or_b32 exec_lo, exec_lo, s2
	global_wb scope:SCOPE_SE
	s_wait_dscnt 0x0
	s_barrier_signal -1
	s_barrier_wait -1
	global_inv scope:SCOPE_SE
	ds_load_2addr_b32 v[33:34], v46 offset1:15
	ds_load_2addr_b32 v[41:42], v46 offset0:30 offset1:45
	ds_load_2addr_b32 v[37:38], v46 offset0:60 offset1:75
	;; [unrolled: 1-line block ×5, first 2 shown]
	ds_load_b32 v117, v46 offset:720
	v_lshrrev_b32_e32 v32, 16, v90
	s_and_saveexec_b32 s0, vcc_lo
	s_cbranch_execz .LBB0_11
; %bb.10:
	ds_load_2addr_b32 v[29:30], v80 offset0:13 offset1:28
	ds_load_2addr_b32 v[11:12], v80 offset0:43 offset1:58
	;; [unrolled: 1-line block ×6, first 2 shown]
	ds_load_b32 v81, v80 offset:772
	s_wait_dscnt 0x6
	v_lshrrev_b32_e32 v114, 16, v29
	v_lshrrev_b32_e32 v115, 16, v30
	s_wait_dscnt 0x5
	v_lshrrev_b32_e32 v85, 16, v11
	v_lshrrev_b32_e32 v84, 16, v12
	;; [unrolled: 3-line block ×6, first 2 shown]
	s_wait_dscnt 0x0
	v_bfi_b32 v92, 0xffff, v31, v81
.LBB0_11:
	s_wait_alu 0xfffe
	s_or_b32 exec_lo, exec_lo, s0
	s_wait_dscnt 0x6
	v_pk_add_f16 v116, v33, v34
	s_wait_dscnt 0x0
	v_pk_add_f16 v118, v34, v117 neg_lo:[0,1] neg_hi:[0,1]
	v_pk_add_f16 v119, v117, v34
	v_lshrrev_b32_e32 v121, 16, v33
	v_add_nc_u32_e32 v31, 0xd0, v46
	v_pk_add_f16 v116, v116, v41
	v_lshrrev_b32_e32 v122, 16, v118
	v_pk_mul_f16 v120, 0xb770, v118 op_sel_hi:[0,1]
	v_lshrrev_b32_e32 v123, 16, v119
	global_wb scope:SCOPE_SE
	v_pk_add_f16 v116, v116, v42
	v_mul_f16_e64 v128, 0xbb7b, v122
	v_pk_fma_f16 v34, 0x3b15, v119, v120 op_sel:[0,0,1] op_sel_hi:[0,1,0]
	v_mul_f16_e32 v125, 0x388b, v123
	v_mul_f16_e32 v127, 0x2fb7, v123
	v_pk_add_f16 v124, v116, v37
	v_fma_f16 v135, 0xb5ac, v119, v128
	v_fma_f16 v128, v119, 0xb5ac, -v128
	v_pk_fma_f16 v116, 0x3b15, v119, v120 op_sel:[0,0,1] op_sel_hi:[0,1,0] neg_lo:[0,0,1] neg_hi:[0,0,1]
	v_mul_f16_e32 v120, 0xba95, v122
	v_pk_add_f16 v124, v124, v38
	v_mul_f16_e64 v129, 0xb5ac, v123
	v_mul_f16_e32 v123, 0xb9fd, v123
	v_bfi_b32 v130, 0xffff, v34, v116
	v_mul_f16_e32 v126, 0xbbf1, v122
	v_pk_add_f16 v124, v124, v35
	v_fma_f16 v131, 0x388b, v119, v120
	v_fma_f16 v132, 0x3a95, v118, v125
	v_fma_f16 v120, v119, 0x388b, -v120
	v_fmac_f16_e32 v125, 0xba95, v118
	v_pk_add_f16 v124, v124, v36
	v_fma_f16 v134, 0x3bf1, v118, v127
	v_fmac_f16_e32 v127, 0xbbf1, v118
	v_fma_f16 v136, 0x3b7b, v118, v129
	v_pk_add_f16 v130, v33, v130
	v_pk_add_f16 v124, v124, v39
	v_fmac_f16_e64 v129, 0xbb7b, v118
	v_fma_f16 v138, 0x394e, v118, v123
	v_fmac_f16_e32 v123, 0xb94e, v118
	v_fma_f16 v133, 0x2fb7, v119, v126
	v_pk_add_f16 v124, v124, v40
	v_fma_f16 v126, v119, 0x2fb7, -v126
	v_add_f16_e64 v131, v33, v131
	v_add_f16_e64 v132, v121, v132
	v_add_f16_e32 v120, v33, v120
	v_pk_add_f16 v124, v124, v43
	v_add_f16_e32 v125, v121, v125
	v_add_f16_e64 v134, v121, v134
	v_add_f16_e32 v127, v121, v127
	v_add_f16_e64 v136, v121, v136
	v_pk_add_f16 v124, v124, v44
	v_add_f16_e64 v129, v121, v129
	v_add_f16_e64 v138, v121, v138
	v_add_f16_e32 v121, v121, v123
	v_mul_f16_e32 v122, 0xb94e, v122
	v_pk_add_f16 v117, v124, v117
	v_add_f16_e64 v124, v33, v128
	v_pk_add_f16 v128, v41, v44 neg_lo:[0,1] neg_hi:[0,1]
	v_pk_add_f16 v41, v44, v41
	v_add_f16_e32 v126, v33, v126
	v_add_f16_e64 v133, v33, v133
	v_add_f16_e64 v135, v33, v135
	v_pk_mul_f16 v44, 0xba95, v128 op_sel_hi:[0,1]
	v_lshrrev_b32_e32 v139, 16, v128
	v_lshrrev_b32_e32 v142, 16, v41
	v_fma_f16 v137, 0xb9fd, v119, v122
	v_fma_f16 v122, v119, 0xb9fd, -v122
	v_pk_fma_f16 v140, 0x388b, v41, v44 op_sel:[0,0,1] op_sel_hi:[0,1,0]
	v_pk_fma_f16 v44, 0x388b, v41, v44 op_sel:[0,0,1] op_sel_hi:[0,1,0] neg_lo:[0,0,1] neg_hi:[0,0,1]
	v_mul_f16_e64 v141, 0xbb7b, v139
	v_mul_f16_e64 v145, 0xb5ac, v142
	;; [unrolled: 1-line block ×3, first 2 shown]
	v_add_f16_e64 v137, v33, v137
	v_bfi_b32 v143, 0xffff, v140, v44
	v_fma_f16 v144, 0xb5ac, v41, v141
	v_fma_f16 v141, v41, 0xb5ac, -v141
	v_add_f16_e32 v122, v33, v122
	v_pk_mul_f16 v119, 0xbbc4, v119 op_sel_hi:[0,1]
	v_pk_add_f16 v123, v143, v130
	v_mul_f16_e64 v130, 0xb3a8, v139
	v_fma_f16 v143, 0x3b7b, v128, v145
	v_add_f16_e64 v131, v144, v131
	v_add_f16_e64 v120, v141, v120
	v_fma_f16 v141, 0x33a8, v128, v146
	v_fma_f16 v144, 0xbbc4, v41, v130
	v_add_f16_e64 v132, v143, v132
	v_mul_f16_e64 v143, 0x394e, v139
	v_fma_f16 v130, v41, 0xbbc4, -v130
	v_add_f16_e64 v134, v141, v134
	v_mul_f16_e64 v139, 0x3bf1, v139
	v_fmac_f16_e64 v145, 0xbb7b, v128
	v_fma_f16 v141, 0xb9fd, v41, v143
	v_add_f16_e64 v126, v130, v126
	v_fma_f16 v130, v41, 0xb9fd, -v143
	v_add_f16_e64 v133, v144, v133
	v_mul_f16_e64 v144, 0xb9fd, v142
	v_add_f16_e64 v135, v141, v135
	v_mul_f16_e64 v141, 0x2fb7, v142
	v_add_f16_e64 v124, v130, v124
	v_pk_add_f16 v130, v42, v43 neg_lo:[0,1] neg_hi:[0,1]
	v_fma_f16 v142, 0x2fb7, v41, v139
	v_add_f16_e64 v125, v145, v125
	v_fma_f16 v145, 0xb94e, v128, v144
	v_fmac_f16_e64 v144, 0x394e, v128
	v_pk_add_f16 v42, v43, v42
	v_add_f16_e64 v137, v142, v137
	v_lshrrev_b32_e32 v142, 16, v130
	v_add_f16_e64 v136, v145, v136
	v_add_f16_e64 v129, v144, v129
	v_fma_f16 v139, v41, 0x2fb7, -v139
	v_lshrrev_b32_e32 v145, 16, v42
	v_mul_f16_e64 v144, 0xb3a8, v142
	v_fma_f16 v143, 0xbbf1, v128, v141
	v_pk_mul_f16 v43, 0xbbf1, v130 op_sel_hi:[0,1]
	v_add_f16_e64 v122, v139, v122
	v_mul_f16_e64 v147, 0xbbc4, v145
	v_fma_f16 v139, 0xbbc4, v42, v144
	v_fmac_f16_e64 v146, 0xb3a8, v128
	v_add_f16_e64 v138, v143, v138
	v_pk_fma_f16 v143, 0x2fb7, v42, v43 op_sel:[0,0,1] op_sel_hi:[0,1,0]
	v_pk_fma_f16 v43, 0x2fb7, v42, v43 op_sel:[0,0,1] op_sel_hi:[0,1,0] neg_lo:[0,0,1] neg_hi:[0,0,1]
	v_fmac_f16_e64 v141, 0x3bf1, v128
	v_add_f16_e64 v131, v139, v131
	v_fma_f16 v139, 0x33a8, v130, v147
	v_fma_f16 v144, v42, 0xbbc4, -v144
	v_mul_f16_e64 v148, 0xb5ac, v145
	v_add_f16_e64 v127, v146, v127
	v_bfi_b32 v146, 0xffff, v143, v43
	v_add_f16_e64 v121, v141, v121
	v_mul_f16_e64 v141, 0x3b7b, v142
	v_add_f16_e64 v132, v139, v132
	v_add_f16_e64 v120, v144, v120
	v_fma_f16 v139, 0xbb7b, v130, v148
	v_mul_f16_e64 v144, 0x3770, v142
	v_pk_add_f16 v123, v146, v123
	v_fma_f16 v146, 0xb5ac, v42, v141
	v_fma_f16 v141, v42, 0xb5ac, -v141
	v_add_f16_e64 v134, v139, v134
	v_fma_f16 v139, 0x3b15, v42, v144
	v_fmac_f16_e64 v147, 0xb3a8, v130
	v_add_f16_e64 v133, v146, v133
	v_add_f16_e64 v126, v141, v126
	v_fma_f16 v141, v42, 0x3b15, -v144
	v_add_f16_e64 v135, v139, v135
	v_mul_f16_e64 v139, 0xba95, v142
	v_mul_f16_e64 v146, 0x3b15, v145
	v_add_f16_e64 v125, v147, v125
	v_add_f16_e64 v124, v141, v124
	v_pk_add_f16 v141, v37, v40 neg_lo:[0,1] neg_hi:[0,1]
	v_fma_f16 v144, 0x388b, v42, v139
	v_fma_f16 v147, 0xb770, v130, v146
	v_fmac_f16_e64 v146, 0x3770, v130
	v_pk_add_f16 v37, v40, v37
	v_mul_f16_e64 v142, 0x388b, v145
	v_add_f16_e64 v137, v144, v137
	v_lshrrev_b32_e32 v144, 16, v141
	v_add_f16_e64 v136, v147, v136
	v_add_f16_e64 v129, v146, v129
	v_fma_f16 v139, v42, 0x388b, -v139
	v_lshrrev_b32_e32 v147, 16, v37
	v_mul_f16_e64 v146, 0x394e, v144
	v_fma_f16 v145, 0x3a95, v130, v142
	v_pk_mul_f16 v40, 0xbb7b, v141 op_sel_hi:[0,1]
	v_add_f16_e64 v122, v139, v122
	v_mul_f16_e64 v149, 0xb9fd, v147
	v_fma_f16 v139, 0xb9fd, v37, v146
	v_fmac_f16_e64 v148, 0x3b7b, v130
	v_add_f16_e64 v138, v145, v138
	v_pk_fma_f16 v145, 0xb5ac, v37, v40 op_sel:[0,0,1] op_sel_hi:[0,1,0]
	v_pk_fma_f16 v40, 0xb5ac, v37, v40 op_sel:[0,0,1] op_sel_hi:[0,1,0] neg_lo:[0,0,1] neg_hi:[0,0,1]
	v_fmac_f16_e64 v142, 0xba95, v130
	v_add_f16_e64 v131, v139, v131
	v_fma_f16 v139, 0xb94e, v141, v149
	v_fma_f16 v146, v37, 0xb9fd, -v146
	v_mul_f16_e64 v150, 0x3b15, v147
	v_add_f16_e64 v127, v148, v127
	v_bfi_b32 v148, 0xffff, v145, v40
	v_add_f16_e64 v121, v142, v121
	v_mul_f16_e64 v142, 0x3770, v144
	v_add_f16_e64 v132, v139, v132
	v_add_f16_e64 v120, v146, v120
	v_fma_f16 v139, 0xb770, v141, v150
	v_mul_f16_e64 v146, 0xbbf1, v144
	v_pk_add_f16 v123, v148, v123
	v_fma_f16 v148, 0x3b15, v37, v142
	v_fma_f16 v142, v37, 0x3b15, -v142
	v_add_f16_e64 v134, v139, v134
	v_fma_f16 v139, 0x2fb7, v37, v146
	v_fmac_f16_e64 v149, 0x394e, v141
	v_add_f16_e64 v133, v148, v133
	v_add_f16_e64 v126, v142, v126
	v_fma_f16 v142, v37, 0x2fb7, -v146
	v_add_f16_e64 v135, v139, v135
	v_mul_f16_e64 v139, 0x33a8, v144
	v_mul_f16_e64 v148, 0x2fb7, v147
	v_add_f16_e64 v125, v149, v125
	v_add_f16_e64 v124, v142, v124
	v_pk_add_f16 v142, v38, v39 neg_lo:[0,1] neg_hi:[0,1]
	v_fma_f16 v146, 0xbbc4, v37, v139
	v_fma_f16 v149, 0x3bf1, v141, v148
	v_mul_f16_e64 v144, 0xbbc4, v147
	v_fmac_f16_e64 v148, 0xbbf1, v141
	v_pk_add_f16 v38, v39, v38
	v_add_f16_e64 v137, v146, v137
	v_lshrrev_b32_e32 v146, 16, v142
	v_add_f16_e64 v136, v149, v136
	v_fma_f16 v147, 0xb3a8, v141, v144
	v_pk_mul_f16 v39, 0xb94e, v142 op_sel_hi:[0,1]
	v_add_f16_e64 v129, v148, v129
	v_fma_f16 v139, v37, 0xbbc4, -v139
	v_mul_f16_e64 v148, 0x3bf1, v146
	v_lshrrev_b32_e32 v149, 16, v38
	v_fmac_f16_e64 v150, 0x3770, v141
	v_add_f16_e64 v138, v147, v138
	v_pk_fma_f16 v147, 0xb9fd, v38, v39 op_sel:[0,0,1] op_sel_hi:[0,1,0]
	v_pk_fma_f16 v39, 0xb9fd, v38, v39 op_sel:[0,0,1] op_sel_hi:[0,1,0] neg_lo:[0,0,1] neg_hi:[0,0,1]
	v_fmac_f16_e64 v144, 0x33a8, v141
	v_add_f16_e64 v122, v139, v122
	v_fma_f16 v139, 0x2fb7, v38, v148
	v_mul_f16_e64 v151, 0x2fb7, v149
	v_add_f16_e64 v127, v150, v127
	v_bfi_b32 v150, 0xffff, v147, v39
	v_add_f16_e64 v121, v144, v121
	v_mul_f16_e64 v144, 0xba95, v146
	v_add_f16_e64 v131, v139, v131
	v_fma_f16 v139, 0xbbf1, v142, v151
	v_fma_f16 v148, v38, 0x2fb7, -v148
	v_mul_f16_e64 v152, 0x388b, v149
	v_pk_add_f16 v123, v150, v123
	v_fma_f16 v150, 0x388b, v38, v144
	v_add_f16_e64 v132, v139, v132
	v_add_f16_e64 v120, v148, v120
	v_fma_f16 v139, 0x3a95, v142, v152
	v_mul_f16_e64 v148, 0x33a8, v146
	v_fma_f16 v144, v38, 0x388b, -v144
	v_fmac_f16_e64 v151, 0x3bf1, v142
	v_add_f16_e64 v133, v150, v133
	v_add_f16_e64 v134, v139, v134
	v_fma_f16 v139, 0xbbc4, v38, v148
	v_add_f16_e64 v126, v144, v126
	v_fma_f16 v144, v38, 0xbbc4, -v148
	v_mul_f16_e64 v150, 0xbbc4, v149
	v_add_f16_e64 v125, v151, v125
	v_add_f16_e64 v135, v139, v135
	v_mul_f16_e64 v139, 0x3770, v146
	v_mul_f16_e64 v146, 0x3b15, v149
	v_add_f16_e64 v124, v144, v124
	v_pk_add_f16 v144, v35, v36 neg_lo:[0,1] neg_hi:[0,1]
	v_fma_f16 v151, 0xb3a8, v142, v150
	v_fmac_f16_e64 v150, 0x33a8, v142
	v_fma_f16 v148, 0x3b15, v38, v139
	v_fma_f16 v149, 0xb770, v142, v146
	v_pk_add_f16 v35, v36, v35
	v_pk_mul_f16 v36, 0xb3a8, v144 op_sel_hi:[0,1]
	v_fmac_f16_e64 v152, 0xba95, v142
	v_add_f16_e64 v129, v150, v129
	v_add_f16_e64 v137, v148, v137
	;; [unrolled: 1-line block ×3, first 2 shown]
	v_lshrrev_b32_e32 v148, 16, v144
	v_pk_fma_f16 v149, 0xbbc4, v35, v36 op_sel:[0,0,1] op_sel_hi:[0,1,0]
	v_pk_fma_f16 v36, 0xbbc4, v35, v36 op_sel:[0,0,1] op_sel_hi:[0,1,0] neg_lo:[0,0,1] neg_hi:[0,0,1]
	v_fma_f16 v139, v38, 0x3b15, -v139
	v_lshrrev_b32_e32 v150, 16, v35
	v_add_f16_e64 v127, v152, v127
	v_add_f16_e64 v136, v151, v136
	v_mul_f16_e64 v151, 0x3770, v148
	v_fmac_f16_e64 v146, 0x3770, v142
	v_bfi_b32 v152, 0xffff, v149, v36
	v_add_f16_e64 v122, v139, v122
	v_mul_f16_e64 v139, 0x3b15, v150
	v_fma_f16 v153, 0x3b15, v35, v151
	v_add_f16_e64 v121, v146, v121
	v_pk_add_f16 v123, v152, v123
	v_mul_f16_e64 v146, 0xb94e, v148
	v_fma_f16 v152, 0xb770, v144, v139
	v_fmac_f16_e64 v139, 0x3770, v144
	v_add_f16_e64 v131, v153, v131
	v_fma_f16 v151, v35, 0x3b15, -v151
	v_fma_f16 v153, 0xb9fd, v35, v146
	v_fma_f16 v146, v35, 0xb9fd, -v146
	v_add_f16_e64 v125, v139, v125
	v_mul_f16_e64 v139, 0x3a95, v148
	v_mul_f16_e64 v148, 0xbb7b, v148
	v_add_f16_e64 v133, v153, v133
	v_mul_f16_e64 v153, 0x388b, v150
	v_add_f16_e64 v132, v152, v132
	v_fma_f16 v154, 0x388b, v35, v139
	v_fma_f16 v139, v35, 0x388b, -v139
	v_mul_f16_e64 v152, 0xb9fd, v150
	v_add_f16_e64 v126, v146, v126
	v_fma_f16 v146, 0xba95, v144, v153
	v_add_f16_e64 v120, v151, v120
	v_add_f16_e64 v124, v139, v124
	v_fma_f16 v139, 0xb5ac, v35, v148
	v_fma_f16 v151, 0x394e, v144, v152
	v_add_f16_e64 v136, v146, v136
	v_mul_f16_e64 v146, 0xb5ac, v150
	v_fma_f16 v148, v35, 0xb5ac, -v148
	v_add_f16_e64 v137, v139, v137
	v_pk_fma_f16 v139, 0xb3a8, v118, v119 op_sel:[0,0,1] op_sel_hi:[0,1,0]
	v_pk_mul_f16 v41, 0x3b15, v41 op_sel_hi:[0,1]
	v_add_f16_e64 v134, v151, v134
	v_fma_f16 v150, 0x3b7b, v144, v146
	v_fmac_f16_e64 v146, 0xbb7b, v144
	v_add_f16_e64 v122, v148, v122
	v_alignbit_b32 v148, s0, v139, 16
	v_pk_fma_f16 v118, 0xb3a8, v118, v119 op_sel:[0,0,1] op_sel_hi:[0,1,0] neg_lo:[0,1,0] neg_hi:[0,1,0]
	v_pk_fma_f16 v119, 0x3770, v128, v41 op_sel:[0,0,1] op_sel_hi:[0,1,0]
	v_pk_mul_f16 v42, 0xb9fd, v42 op_sel_hi:[0,1]
	v_add_f16_e64 v121, v146, v121
	v_pack_b32_f16 v133, v133, v134
	v_pk_add_f16 v134, v33, v148
	v_alignbit_b32 v146, s0, v33, 16
	v_pk_add_f16 v118, v33, v118 op_sel:[1,0] op_sel_hi:[0,1]
	v_alignbit_b32 v148, s0, v119, 16
	v_pk_fma_f16 v41, 0x3770, v128, v41 op_sel:[0,0,1] op_sel_hi:[0,1,0] neg_lo:[0,1,0] neg_hi:[0,1,0]
	v_pk_fma_f16 v128, 0xb94e, v130, v42 op_sel:[0,0,1] op_sel_hi:[0,1,0]
	v_pk_mul_f16 v37, 0x388b, v37 op_sel_hi:[0,1]
	v_pk_add_f16 v139, v146, v139
	v_pk_add_f16 v134, v148, v134
	;; [unrolled: 1-line block ×3, first 2 shown]
	v_alignbit_b32 v118, s0, v128, 16
	v_pk_fma_f16 v42, 0xb94e, v130, v42 op_sel:[0,0,1] op_sel_hi:[0,1,0] neg_lo:[0,1,0] neg_hi:[0,1,0]
	v_pk_fma_f16 v130, 0x3a95, v141, v37 op_sel:[0,0,1] op_sel_hi:[0,1,0]
	v_pk_mul_f16 v38, 0xb5ac, v38 op_sel_hi:[0,1]
	v_bfi_b32 v34, 0xffff, v116, v34
	v_pk_add_f16 v119, v119, v139
	v_pk_add_f16 v118, v118, v134
	;; [unrolled: 1-line block ×3, first 2 shown]
	v_alignbit_b32 v42, s0, v130, 16
	v_pk_fma_f16 v37, 0x3a95, v141, v37 op_sel:[0,0,1] op_sel_hi:[0,1,0] neg_lo:[0,1,0] neg_hi:[0,1,0]
	v_pk_fma_f16 v134, 0xbb7b, v142, v38 op_sel:[0,0,1] op_sel_hi:[0,1,0]
	v_pk_add_f16 v33, v33, v34
	v_bfi_b32 v34, 0xffff, v44, v140
	v_pk_add_f16 v119, v128, v119
	v_pk_add_f16 v42, v42, v118
	v_pk_add_f16 v37, v37, v41
	v_alignbit_b32 v41, s0, v134, 16
	v_pk_mul_f16 v35, 0x2fb7, v35 op_sel_hi:[0,1]
	v_pk_add_f16 v33, v34, v33
	v_bfi_b32 v34, 0xffff, v43, v143
	v_pk_add_f16 v44, v130, v119
	v_pk_fma_f16 v38, 0xbb7b, v142, v38 op_sel:[0,0,1] op_sel_hi:[0,1,0] neg_lo:[0,1,0] neg_hi:[0,1,0]
	v_pk_add_f16 v41, v41, v42
	v_pk_fma_f16 v42, 0x3bf1, v144, v35 op_sel:[0,0,1] op_sel_hi:[0,1,0]
	v_pk_add_f16 v33, v34, v33
	v_bfi_b32 v34, 0xffff, v40, v145
	v_pk_add_f16 v37, v38, v37
	v_pk_add_f16 v38, v134, v44
	v_alignbit_b32 v43, s0, v42, 16
	v_pk_fma_f16 v35, 0x3bf1, v144, v35 op_sel:[0,0,1] op_sel_hi:[0,1,0] neg_lo:[0,1,0] neg_hi:[0,1,0]
	v_fmac_f16_e64 v153, 0x3a95, v144
	v_fmac_f16_e64 v152, 0xb94e, v144
	v_pk_add_f16 v33, v34, v33
	v_bfi_b32 v34, 0xffff, v39, v147
	v_add_f16_e64 v135, v154, v135
	v_add_f16_e64 v138, v150, v138
	v_pk_add_f16 v41, v43, v41
	v_pk_add_f16 v35, v35, v37
	;; [unrolled: 1-line block ×3, first 2 shown]
	v_add_f16_e64 v129, v153, v129
	v_add_f16_e64 v127, v152, v127
	v_pk_add_f16 v33, v34, v33
	v_bfi_b32 v34, 0xffff, v36, v149
	v_pack_b32_f16 v40, v131, v132
	v_pack_b32_f16 v38, v137, v138
	v_pack_b32_f16 v39, v135, v136
	v_alignbit_b32 v37, v37, v35, 16
	v_pack_b32_f16 v35, v41, v35
	v_pack_b32_f16 v36, v124, v129
	;; [unrolled: 1-line block ×3, first 2 shown]
	s_barrier_signal -1
	s_barrier_wait -1
	global_inv scope:SCOPE_SE
	v_pack_b32_f16 v42, v120, v125
	v_pack_b32_f16 v43, v126, v127
	v_pk_add_f16 v33, v34, v33
	ds_store_2addr_b32 v113, v117, v123 offset1:1
	ds_store_2addr_b32 v113, v40, v133 offset0:2 offset1:3
	ds_store_2addr_b32 v113, v39, v38 offset0:4 offset1:5
	;; [unrolled: 1-line block ×5, first 2 shown]
	ds_store_b32 v113, v33 offset:48
	s_and_saveexec_b32 s0, vcc_lo
	s_cbranch_execz .LBB0_13
; %bb.12:
	v_lshrrev_b32_e32 v119, 16, v92
	v_sub_f16_e32 v37, v30, v81
	v_add_f16_e32 v120, v82, v85
	v_sub_f16_e32 v35, v11, v14
	v_add_f16_e32 v121, v83, v84
	v_add_f16_e32 v122, v119, v115
	v_sub_f16_e64 v129, v115, v119
	v_mul_f16_e32 v126, 0x3b15, v120
	v_sub_f16_e32 v36, v12, v13
	v_add_f16_e32 v39, v81, v30
	v_mul_f16_e32 v125, 0xbbc4, v122
	v_sub_f16_e32 v127, v85, v82
	v_mul_f16_e64 v128, 0xb9fd, v121
	v_fmamk_f16 v41, v35, 0xb770, v126
	v_mul_f16_e64 v131, 0xb3a8, v129
	v_fmamk_f16 v40, v37, 0x33a8, v125
	v_add_f16_e32 v38, v14, v11
	v_fma_f16 v43, 0x394e, v36, v128
	v_sub_f16_e64 v132, v84, v83
	v_mul_f16_e64 v133, 0x3770, v127
	v_add_f16_e32 v42, v114, v40
	v_fma_f16 v44, 0xbbc4, v39, v131
	v_add_f16_e32 v40, v13, v12
	v_mul_f16_e64 v135, 0xb94e, v132
	v_sub_f16_e64 v136, v86, v87
	v_add_f16_e32 v41, v41, v42
	v_add_f16_e32 v44, v29, v44
	;; [unrolled: 1-line block ×3, first 2 shown]
	v_fma_f16 v116, 0xb9fd, v40, v135
	v_mul_f16_e64 v138, 0x3a95, v136
	v_add_f16_e32 v41, v43, v41
	v_fma_f16 v43, 0x3b15, v38, v133
	v_sub_f16_e64 v140, v89, v88
	v_sub_f16_e32 v33, v15, v18
	v_add_f16_e32 v124, v88, v89
	v_mul_f16_e64 v130, 0x388b, v123
	v_add_f16_e32 v44, v43, v44
	v_add_f16_e32 v43, v18, v15
	v_mul_f16_e64 v141, 0xbb7b, v140
	v_mul_f16_e64 v142, 0xb9fd, v122
	v_sub_f16_e32 v34, v16, v17
	v_add_f16_e32 v116, v116, v44
	v_fma_f16 v117, 0x388b, v43, v138
	v_add_f16_e32 v44, v17, v16
	v_fma_f16 v42, 0xba95, v33, v130
	v_mul_f16_e64 v134, 0xb5ac, v124
	v_add_f16_e64 v137, v91, v90
	v_add_f16_e32 v116, v117, v116
	v_fma_f16 v117, 0xb5ac, v44, v141
	v_fma_f16 v118, 0x394e, v37, v142
	v_mul_f16_e64 v143, 0x2fb7, v120
	v_add_f16_e32 v42, v42, v41
	v_fma_f16 v113, 0x3b7b, v34, v134
	v_mul_f16_e64 v139, 0x2fb7, v137
	v_sub_f16_e32 v41, v92, v32
	v_add_f16_e32 v116, v117, v116
	v_add_f16_e32 v117, v114, v118
	v_fma_f16 v118, 0xbbf1, v35, v143
	v_mul_f16_e64 v145, 0x388b, v121
	v_add_f16_e32 v42, v113, v42
	v_fma_f16 v113, 0xbbf1, v41, v139
	v_sub_f16_e64 v144, v90, v91
	v_mul_f16_e64 v147, 0xb94e, v129
	v_add_f16_e32 v117, v118, v117
	v_fma_f16 v118, 0x3a95, v36, v145
	v_mul_f16_e64 v148, 0xbbc4, v123
	v_add_f16_e32 v42, v113, v42
	v_add_f16_e32 v113, v32, v92
	v_mul_f16_e64 v146, 0x3bf1, v144
	v_fma_f16 v150, 0xb9fd, v39, v147
	v_mul_f16_e64 v151, 0x3bf1, v127
	v_add_f16_e32 v117, v118, v117
	v_fma_f16 v118, 0xb3a8, v33, v148
	v_mul_f16_e64 v152, 0x3b15, v124
	v_fma_f16 v149, 0x2fb7, v113, v146
	v_add_f16_e64 v150, v29, v150
	v_fma_f16 v153, 0x2fb7, v38, v151
	v_mul_f16_e64 v154, 0xba95, v132
	v_add_f16_e32 v117, v118, v117
	v_fma_f16 v118, 0xb770, v34, v152
	v_mul_f16_e64 v155, 0xb5ac, v137
	v_mul_f16_e64 v156, 0xb5ac, v122
	v_add_f16_e64 v116, v149, v116
	v_add_f16_e64 v149, v153, v150
	v_fma_f16 v150, 0x388b, v40, v154
	v_mul_f16_e64 v153, 0x33a8, v136
	v_add_f16_e32 v117, v118, v117
	v_fma_f16 v157, 0x3b7b, v41, v155
	v_fma_f16 v158, 0x3b7b, v37, v156
	v_mul_f16_e64 v159, 0xb9fd, v120
	v_add_f16_e64 v118, v150, v149
	v_fma_f16 v149, 0xbbc4, v43, v153
	v_mul_f16_e64 v150, 0x3770, v140
	v_add_f16_e64 v117, v157, v117
	v_add_f16_e64 v157, v114, v158
	v_fma_f16 v158, 0xb94e, v35, v159
	v_mul_f16_e64 v160, 0x3b15, v121
	v_add_f16_e64 v118, v149, v118
	v_fma_f16 v149, 0x3b15, v44, v150
	v_mul_f16_e64 v161, 0xbb7b, v129
	;; [unrolled: 3-line block ×3, first 2 shown]
	v_add_f16_e64 v118, v149, v118
	v_mul_f16_e64 v149, 0xbb7b, v144
	v_fma_f16 v164, 0xb5ac, v39, v161
	v_mul_f16_e64 v165, 0x394e, v127
	v_add_f16_e64 v157, v158, v157
	v_fma_f16 v158, 0x3bf1, v33, v162
	v_mul_f16_e64 v166, 0xbbc4, v124
	v_fma_f16 v163, 0xb5ac, v113, v149
	v_add_f16_e64 v164, v29, v164
	v_fma_f16 v167, 0xb9fd, v38, v165
	v_mul_f16_e64 v168, 0x3770, v132
	v_add_f16_e64 v157, v158, v157
	v_fma_f16 v158, 0xb3a8, v34, v166
	v_add_f16_e64 v118, v163, v118
	v_add_f16_e64 v163, v167, v164
	v_fma_f16 v164, 0x3b15, v40, v168
	v_mul_f16_e64 v167, 0xbbf1, v136
	v_add_f16_e64 v157, v158, v157
	v_mul_f16_e64 v158, 0x388b, v137
	v_mul_f16_e64 v169, 0x2fb7, v122
	v_add_f16_e64 v163, v164, v163
	v_fma_f16 v164, 0x2fb7, v43, v167
	v_mul_f16_e64 v170, 0x33a8, v140
	v_fma_f16 v171, 0xba95, v41, v158
	v_fma_f16 v172, 0x3bf1, v37, v169
	v_mul_f16_e64 v173, 0xbbc4, v120
	v_add_f16_e64 v163, v164, v163
	v_fma_f16 v164, 0xbbc4, v44, v170
	v_add_f16_e64 v157, v171, v157
	v_add_f16_e64 v171, v114, v172
	v_fma_f16 v172, 0x33a8, v35, v173
	v_mul_f16_e64 v174, 0xb5ac, v121
	v_mul_f16_e64 v175, 0xbbf1, v129
	v_add_f16_e64 v163, v164, v163
	v_mul_f16_e64 v164, 0x3a95, v144
	v_add_f16_e64 v171, v172, v171
	v_fma_f16 v172, 0xbb7b, v36, v174
	v_mul_f16_e64 v176, 0x3b15, v123
	v_fma_f16 v178, 0x2fb7, v39, v175
	v_mul_f16_e64 v179, 0xb3a8, v127
	v_fma_f16 v177, 0x388b, v113, v164
	v_add_f16_e64 v171, v172, v171
	v_fma_f16 v172, 0xb770, v33, v176
	v_mul_f16_e64 v180, 0x388b, v124
	v_add_f16_e64 v178, v29, v178
	v_fma_f16 v181, 0xbbc4, v38, v179
	v_mul_f16_e64 v182, 0x3b7b, v132
	v_add_f16_e64 v171, v172, v171
	v_fma_f16 v172, 0x3a95, v34, v180
	v_add_f16_e64 v163, v177, v163
	v_add_f16_e64 v177, v181, v178
	v_fma_f16 v178, 0xb5ac, v40, v182
	v_mul_f16_e64 v181, 0x3770, v136
	v_add_f16_e64 v171, v172, v171
	v_mul_f16_e64 v172, 0x388b, v122
	v_mul_f16_e64 v184, 0xba95, v140
	v_add_f16_e64 v177, v178, v177
	v_fma_f16 v178, 0x3b15, v43, v181
	v_mul_f16_e64 v183, 0xb9fd, v137
	v_fma_f16 v185, 0x3a95, v37, v172
	v_mul_f16_e64 v186, 0xb5ac, v120
	v_mul_f16_e64 v189, 0xbbc4, v121
	v_add_f16_e64 v177, v178, v177
	v_fma_f16 v178, 0x388b, v44, v184
	v_fma_f16 v187, 0x394e, v41, v183
	v_add_f16_e64 v185, v114, v185
	v_fma_f16 v188, 0x3b7b, v35, v186
	v_mul_f16_e64 v192, 0xbb7b, v127
	v_add_f16_e64 v177, v178, v177
	v_mul_f16_e64 v178, 0xba95, v129
	v_add_f16_e64 v171, v187, v171
	v_add_f16_e64 v185, v188, v185
	v_fma_f16 v187, 0x33a8, v36, v189
	v_mul_f16_e64 v188, 0xb9fd, v123
	v_fma_f16 v191, 0x388b, v39, v178
	v_mul_f16_e64 v193, 0x2fb7, v124
	v_fma_f16 v194, 0xb5ac, v38, v192
	v_add_f16_e64 v185, v187, v185
	v_fma_f16 v187, 0xb94e, v33, v188
	v_add_f16_e64 v191, v29, v191
	v_mul_f16_e64 v195, 0xb3a8, v132
	v_mul_f16_e64 v197, 0x394e, v136
	v_mul_f16_e32 v122, 0x3b15, v122
	v_add_f16_e64 v185, v187, v185
	v_fma_f16 v187, 0xbbf1, v34, v193
	v_add_f16_e64 v191, v194, v191
	v_fma_f16 v194, 0xbbc4, v40, v195
	v_fma_f16 v198, 0x3770, v37, v122
	v_mul_f16_e32 v120, 0x388b, v120
	v_add_f16_e64 v185, v187, v185
	v_add_f16_e32 v30, v30, v29
	v_add_f16_e64 v187, v194, v191
	v_fma_f16 v191, 0xb9fd, v43, v197
	v_mul_f16_e64 v194, 0x3bf1, v140
	v_mul_f16_e64 v199, 0x3770, v144
	v_add_f16_e64 v198, v114, v198
	v_fma_f16 v200, 0x3a95, v35, v120
	v_add_f16_e64 v187, v191, v187
	v_fma_f16 v191, 0x2fb7, v44, v194
	v_mul_f16_e32 v121, 0x2fb7, v121
	v_add_f16_e32 v11, v11, v30
	v_add_f16_e64 v198, v200, v198
	v_mul_f16_e32 v123, 0xb5ac, v123
	v_add_f16_e64 v187, v191, v187
	v_fma_f16 v191, 0x3b15, v113, v199
	v_fma_f16 v200, 0x3bf1, v36, v121
	v_add_f16_e32 v30, v115, v114
	v_add_f16_e32 v11, v12, v11
	v_fmamk_f16 v115, v33, 0x3b7b, v123
	v_add_f16_e64 v187, v191, v187
	v_add_f16_e64 v191, v200, v198
	v_mul_f16_e32 v124, 0xb9fd, v124
	v_mul_f16_e64 v129, 0xb770, v129
	v_add_f16_e32 v12, v85, v30
	v_add_f16_e32 v11, v15, v11
	v_add_f16_e64 v30, v115, v191
	v_fmamk_f16 v85, v34, 0x394e, v124
	v_fma_f16 v115, 0x3b15, v39, v129
	v_add_f16_e32 v12, v84, v12
	v_mul_f16_e32 v15, 0xba95, v127
	v_add_f16_e32 v11, v16, v11
	v_add_f16_e32 v30, v85, v30
	;; [unrolled: 1-line block ×4, first 2 shown]
	v_fmamk_f16 v16, v38, 0x388b, v15
	v_mul_f16_e64 v85, 0xbbf1, v132
	v_mul_f16_e64 v86, 0xbbc4, v137
	v_add_f16_e32 v11, v92, v11
	v_add_f16_e32 v12, v89, v12
	;; [unrolled: 1-line block ×3, first 2 shown]
	v_fmamk_f16 v84, v40, 0x2fb7, v85
	v_mul_f16_e64 v89, 0xbb7b, v136
	v_add_f16_e32 v11, v32, v11
	v_fmamk_f16 v32, v41, 0x33a8, v86
	v_add_f16_e32 v12, v90, v12
	v_add_f16_e32 v16, v84, v16
	v_fmamk_f16 v84, v43, 0xb5ac, v89
	v_add_f16_e32 v11, v17, v11
	v_add_f16_e32 v17, v32, v30
	v_mul_f16_e64 v30, 0xb94e, v140
	v_mul_f16_e64 v32, 0xb3a8, v144
	v_add_f16_e32 v16, v84, v16
	v_add_f16_e32 v11, v18, v11
	;; [unrolled: 1-line block ×3, first 2 shown]
	v_fmamk_f16 v18, v44, 0xb9fd, v30
	v_fmac_f16_e64 v156, 0xbb7b, v37
	v_fmac_f16_e64 v159, 0x394e, v35
	v_add_f16_e32 v11, v13, v11
	v_add_f16_e32 v12, v88, v12
	;; [unrolled: 1-line block ×3, first 2 shown]
	v_fmamk_f16 v18, v113, 0xbbc4, v32
	v_add_f16_e64 v84, v114, v156
	v_add_f16_e32 v11, v14, v11
	v_add_f16_e32 v12, v87, v12
	v_fmac_f16_e64 v169, 0xbbf1, v37
	v_add_f16_e32 v14, v18, v16
	v_fma_f16 v16, v39, 0xbbc4, -v131
	v_fma_f16 v18, v38, 0x3b15, -v133
	v_add_f16_e32 v12, v83, v12
	v_fma_f16 v83, v38, 0x2fb7, -v151
	v_fma_f16 v87, v113, 0xb5ac, -v149
	v_add_f16_e32 v16, v29, v16
	v_add_f16_e64 v88, v114, v169
	v_add_f16_e32 v12, v82, v12
	v_fma_f16 v82, v39, 0xb9fd, -v147
	v_fmac_f16_e64 v173, 0xb3a8, v35
	v_add_f16_e32 v16, v18, v16
	v_fma_f16 v18, v40, 0xb9fd, -v135
	v_fma_f16 v91, v113, 0x388b, -v164
	v_add_f16_e32 v82, v29, v82
	v_fmac_f16_e32 v125, 0xb3a8, v37
	v_fmac_f16_e64 v142, 0xb94e, v37
	v_add_f16_e32 v16, v18, v16
	v_fma_f16 v18, v43, 0x388b, -v138
	v_add_f16_e32 v82, v83, v82
	v_fma_f16 v83, v40, 0x388b, -v154
	v_fmac_f16_e64 v172, 0xba95, v37
	v_fmac_f16_e32 v122, 0xb770, v37
	v_add_f16_e32 v16, v18, v16
	v_fma_f16 v18, v44, 0xb5ac, -v141
	v_fma_f16 v37, v39, 0x3b15, -v129
	v_add_f16_e32 v13, v114, v125
	v_fmac_f16_e32 v126, 0x3770, v35
	v_add_f16_e32 v11, v81, v11
	v_add_f16_e32 v16, v18, v16
	v_fma_f16 v18, v113, 0x2fb7, -v146
	v_add_f16_e64 v81, v114, v142
	v_fmac_f16_e64 v143, 0x3bf1, v35
	v_fma_f16 v90, v38, 0xbbc4, -v179
	v_fmac_f16_e64 v186, 0xbb7b, v35
	v_add_f16_e32 v16, v18, v16
	v_add_f16_e32 v18, v83, v82
	v_fma_f16 v82, v43, 0xbbc4, -v153
	v_add_f16_e64 v83, v159, v84
	v_fma_f16 v84, v39, 0xb5ac, -v161
	v_add_f16_e32 v92, v114, v122
	v_fmac_f16_e32 v120, 0xba95, v35
	v_add_f16_e32 v18, v82, v18
	v_fma_f16 v82, v44, 0x3b15, -v150
	v_fma_f16 v15, v38, 0x388b, -v15
	v_mul_f16_e64 v190, 0xb94e, v144
	v_add_f16_e32 v13, v126, v13
	v_fmac_f16_e64 v128, 0xb94e, v36
	v_add_f16_e32 v18, v82, v18
	v_add_f16_e32 v82, v29, v84
	v_fma_f16 v84, v38, 0xb9fd, -v165
	v_add_f16_e64 v81, v143, v81
	v_fmac_f16_e64 v145, 0xba95, v36
	v_add_f16_e32 v18, v87, v18
	v_add_f16_e64 v87, v173, v88
	v_add_f16_e32 v82, v84, v82
	v_fma_f16 v84, v40, 0x3b15, -v168
	v_fma_f16 v88, v44, 0xbbc4, -v170
	v_fmac_f16_e64 v160, 0x3770, v36
	v_fmac_f16_e64 v174, 0x3b7b, v36
	;; [unrolled: 1-line block ×3, first 2 shown]
	v_add_f16_e32 v82, v84, v82
	v_fma_f16 v84, v43, 0x2fb7, -v167
	v_fmac_f16_e32 v121, 0xbbf1, v36
	v_fma_f16 v196, 0xb9fd, v113, v190
	v_add_f16_e64 v13, v128, v13
	v_fmac_f16_e64 v130, 0x3a95, v33
	v_add_f16_e32 v82, v84, v82
	v_fma_f16 v84, v39, 0x2fb7, -v175
	v_add_f16_e64 v81, v145, v81
	v_fmac_f16_e64 v148, 0x33a8, v33
	v_add_f16_e64 v83, v160, v83
	v_add_f16_e32 v82, v88, v82
	v_add_f16_e32 v84, v29, v84
	v_add_f16_e64 v88, v114, v172
	v_fmac_f16_e64 v162, 0xbbf1, v33
	v_add_f16_e64 v87, v174, v87
	v_add_f16_e32 v82, v91, v82
	v_fma_f16 v91, v39, 0x388b, -v178
	v_add_f16_e32 v84, v90, v84
	v_fma_f16 v90, v40, 0xb5ac, -v182
	v_add_f16_e64 v88, v186, v88
	v_fmac_f16_e64 v176, 0x3770, v33
	v_add_f16_e32 v39, v29, v91
	v_fma_f16 v91, v38, 0xb5ac, -v192
	v_add_f16_e32 v29, v29, v37
	v_fma_f16 v37, v40, 0xbbc4, -v195
	v_add_f16_e32 v38, v120, v92
	v_add_f16_e32 v84, v90, v84
	;; [unrolled: 1-line block ×4, first 2 shown]
	v_fma_f16 v29, v40, 0x2fb7, -v85
	v_fma_f16 v90, v43, 0x3b15, -v181
	v_add_f16_e64 v88, v189, v88
	v_fmac_f16_e64 v188, 0x394e, v33
	v_add_f16_e32 v35, v37, v35
	v_fma_f16 v36, v43, 0xb9fd, -v197
	v_add_f16_e32 v37, v121, v38
	v_fmac_f16_e32 v123, 0xbb7b, v33
	v_add_f16_e32 v15, v29, v15
	v_fma_f16 v29, v43, 0xb5ac, -v89
	v_add_f16_e64 v177, v196, v177
	v_mul_f16_e64 v196, 0x3b15, v137
	v_add_f16_e64 v13, v130, v13
	v_fmac_f16_e64 v134, 0xbb7b, v34
	v_add_f16_e64 v81, v148, v81
	v_fmac_f16_e64 v152, 0x3770, v34
	;; [unrolled: 2-line block ×4, first 2 shown]
	v_add_f16_e32 v84, v90, v84
	v_fma_f16 v90, v44, 0x388b, -v184
	v_add_f16_e64 v88, v188, v88
	v_fmac_f16_e64 v193, 0x3bf1, v34
	v_add_f16_e32 v33, v36, v35
	v_fma_f16 v35, v44, 0x2fb7, -v194
	v_add_f16_e32 v36, v123, v37
	v_fmac_f16_e32 v124, 0xb94e, v34
	v_add_f16_e32 v15, v29, v15
	v_fma_f16 v29, v44, 0xb9fd, -v30
	v_fma_f16 v201, 0xb770, v41, v196
	v_add_f16_e64 v13, v134, v13
	v_fmac_f16_e64 v139, 0x3bf1, v41
	v_add_f16_e64 v81, v152, v81
	v_fmac_f16_e64 v155, 0xbb7b, v41
	;; [unrolled: 2-line block ×3, first 2 shown]
	v_add_f16_e32 v12, v119, v12
	v_add_f16_e64 v87, v180, v87
	v_fmac_f16_e64 v183, 0xb94e, v41
	v_add_f16_e32 v84, v90, v84
	v_fma_f16 v90, v113, 0xb9fd, -v190
	v_add_f16_e64 v88, v193, v88
	v_fmac_f16_e64 v196, 0x3770, v41
	v_add_f16_e32 v30, v35, v33
	v_fma_f16 v33, v113, 0x3b15, -v199
	v_add_f16_e32 v34, v124, v36
	v_fmac_f16_e32 v86, 0xb3a8, v41
	v_add_f16_e32 v15, v29, v15
	v_fma_f16 v29, v113, 0xbbc4, -v32
	v_add_f16_e64 v185, v201, v185
	v_add_f16_e64 v13, v139, v13
	;; [unrolled: 1-line block ×5, first 2 shown]
	v_add_f16_e32 v32, v90, v84
	v_add_f16_e64 v35, v196, v88
	v_add_f16_e32 v30, v33, v30
	v_add_f16_e32 v33, v86, v34
	;; [unrolled: 1-line block ×3, first 2 shown]
	v_lshl_add_u32 v29, v93, 2, v79
	v_pack_b32_f16 v14, v14, v17
	v_pack_b32_f16 v11, v11, v12
	;; [unrolled: 1-line block ×13, first 2 shown]
	ds_store_2addr_b32 v29, v11, v14 offset1:1
	ds_store_2addr_b32 v29, v17, v12 offset0:2 offset1:3
	ds_store_2addr_b32 v29, v36, v34 offset0:4 offset1:5
	;; [unrolled: 1-line block ×5, first 2 shown]
	ds_store_b32 v29, v15 offset:48
.LBB0_13:
	s_wait_alu 0xfffe
	s_or_b32 exec_lo, exec_lo, s0
	global_wb scope:SCOPE_SE
	s_wait_dscnt 0x0
	s_barrier_signal -1
	s_barrier_wait -1
	global_inv scope:SCOPE_SE
	ds_load_2addr_b32 v[11:12], v46 offset1:13
	ds_load_2addr_b32 v[13:14], v46 offset0:26 offset1:39
	ds_load_2addr_b32 v[15:16], v46 offset0:78 offset1:91
	;; [unrolled: 1-line block ×6, first 2 shown]
	ds_load_b32 v36, v46 offset:728
	global_wb scope:SCOPE_SE
	s_wait_dscnt 0x0
	s_barrier_signal -1
	s_barrier_wait -1
	global_inv scope:SCOPE_SE
	s_mov_b32 s8, 0x15015015
	s_mov_b32 s9, 0x3f750150
	v_lshrrev_b32_e32 v37, 16, v11
	v_lshrrev_b32_e32 v38, 16, v14
	v_lshrrev_b32_e32 v39, 16, v15
	v_lshrrev_b32_e32 v40, 16, v18
	v_mul_f16_e32 v88, v108, v14
	v_lshrrev_b32_e32 v43, 16, v32
	v_mul_f16_e32 v87, v108, v38
	v_lshrrev_b32_e32 v41, 16, v29
	v_lshrrev_b32_e32 v44, 16, v16
	v_mul_f16_e32 v89, v107, v39
	v_mul_f16_e32 v90, v107, v15
	;; [unrolled: 1-line block ×3, first 2 shown]
	v_fmac_f16_e32 v87, v0, v14
	v_fma_f16 v14, v0, v38, -v88
	v_mul_f16_e32 v88, v108, v43
	v_lshrrev_b32_e32 v79, 16, v34
	v_lshrrev_b32_e32 v81, 16, v30
	v_fmac_f16_e32 v89, v1, v15
	v_fma_f16 v15, v1, v39, -v90
	v_fmac_f16_e32 v91, v2, v18
	v_mul_f16_e32 v18, v106, v18
	v_mul_f16_e32 v38, v105, v41
	;; [unrolled: 1-line block ×4, first 2 shown]
	v_fmac_f16_e32 v88, v0, v32
	v_mul_f16_e32 v32, v107, v44
	v_lshrrev_b32_e32 v83, 16, v33
	v_lshrrev_b32_e32 v84, 16, v17
	v_fma_f16 v18, v2, v40, -v18
	v_fmac_f16_e32 v38, v3, v29
	v_fma_f16 v29, v3, v41, -v39
	v_fma_f16 v0, v0, v43, -v90
	v_mul_f16_e32 v39, v107, v16
	v_mul_f16_e32 v40, v106, v79
	;; [unrolled: 1-line block ×4, first 2 shown]
	v_fmac_f16_e32 v32, v1, v16
	v_mul_f16_e32 v16, v105, v30
	v_lshrrev_b32_e32 v85, 16, v35
	v_fma_f16 v1, v1, v44, -v39
	v_fmac_f16_e32 v40, v2, v34
	v_fma_f16 v2, v2, v79, -v41
	v_fmac_f16_e32 v43, v3, v30
	v_mul_f16_e32 v30, v112, v83
	v_mul_f16_e32 v39, v111, v84
	;; [unrolled: 1-line block ×3, first 2 shown]
	v_fma_f16 v3, v3, v81, -v16
	v_add_f16_e32 v16, v89, v91
	v_lshrrev_b32_e32 v86, 16, v36
	v_mul_f16_e32 v34, v112, v33
	v_fmac_f16_e32 v30, v4, v33
	v_fmac_f16_e32 v39, v5, v17
	v_fma_f16 v5, v5, v84, -v41
	v_mul_f16_e32 v17, v110, v85
	v_mul_f16_e32 v33, v110, v35
	v_add_f16_e32 v41, v11, v87
	v_fma_f16 v16, -0.5, v16, v11
	v_sub_f16_e32 v44, v14, v29
	v_fma_f16 v4, v4, v83, -v34
	v_mul_f16_e32 v34, v109, v86
	v_fmac_f16_e32 v17, v6, v35
	v_fma_f16 v6, v6, v85, -v33
	v_add_f16_e32 v33, v41, v89
	v_fmamk_f16 v35, v44, 0xbb9c, v16
	v_sub_f16_e32 v41, v15, v18
	v_sub_f16_e32 v79, v87, v89
	;; [unrolled: 1-line block ×3, first 2 shown]
	v_add_f16_e32 v83, v87, v38
	v_fmac_f16_e32 v16, 0x3b9c, v44
	v_fmac_f16_e32 v34, v7, v36
	v_mul_f16_e32 v36, v109, v36
	v_add_f16_e32 v33, v33, v91
	v_fmac_f16_e32 v35, 0xb8b4, v41
	v_add_f16_e32 v79, v79, v81
	v_fma_f16 v11, -0.5, v83, v11
	v_sub_f16_e32 v81, v89, v87
	v_sub_f16_e32 v83, v91, v38
	v_fmac_f16_e32 v16, 0x38b4, v41
	v_add_f16_e32 v84, v37, v14
	v_add_f16_e32 v85, v15, v18
	v_fma_f16 v7, v7, v86, -v36
	v_add_f16_e32 v33, v33, v38
	v_fmac_f16_e32 v35, 0x34f2, v79
	v_fmamk_f16 v36, v41, 0x3b9c, v11
	v_add_f16_e32 v81, v81, v83
	v_fmac_f16_e32 v11, 0xbb9c, v41
	v_add_f16_e32 v41, v84, v15
	v_fma_f16 v83, -0.5, v85, v37
	v_sub_f16_e32 v38, v87, v38
	v_fmac_f16_e32 v16, 0x34f2, v79
	v_add_f16_e32 v79, v14, v29
	v_sub_f16_e32 v85, v14, v15
	v_sub_f16_e32 v14, v15, v14
	;; [unrolled: 1-line block ×3, first 2 shown]
	v_fmac_f16_e32 v36, 0xb8b4, v44
	v_fmac_f16_e32 v11, 0x38b4, v44
	v_add_f16_e32 v41, v41, v18
	v_fmamk_f16 v44, v38, 0x3b9c, v83
	v_sub_f16_e32 v84, v89, v91
	v_sub_f16_e32 v86, v29, v18
	v_fmac_f16_e32 v37, -0.5, v79
	v_fmac_f16_e32 v83, 0xbb9c, v38
	v_add_f16_e32 v18, v32, v40
	v_add_f16_e32 v14, v14, v15
	;; [unrolled: 1-line block ×3, first 2 shown]
	v_lshrrev_b32_e32 v42, 16, v12
	v_fmac_f16_e32 v36, 0x34f2, v81
	v_fmac_f16_e32 v11, 0x34f2, v81
	v_add_f16_e32 v41, v41, v29
	v_fmac_f16_e32 v44, 0x38b4, v84
	v_add_f16_e32 v79, v85, v86
	v_fmamk_f16 v81, v84, 0xbb9c, v37
	v_fmac_f16_e32 v83, 0xb8b4, v84
	v_fma_f16 v18, -0.5, v18, v12
	v_sub_f16_e32 v29, v0, v3
	v_fmac_f16_e32 v37, 0x3b9c, v84
	v_add_f16_e32 v15, v15, v32
	v_add_f16_e32 v87, v88, v43
	v_fmac_f16_e32 v44, 0x34f2, v79
	v_fmac_f16_e32 v81, 0x38b4, v38
	;; [unrolled: 1-line block ×3, first 2 shown]
	v_fmamk_f16 v79, v29, 0xbb9c, v18
	v_sub_f16_e32 v84, v1, v2
	v_sub_f16_e32 v85, v88, v32
	;; [unrolled: 1-line block ×3, first 2 shown]
	v_fmac_f16_e32 v37, 0xb8b4, v38
	v_add_f16_e32 v15, v15, v40
	v_fmac_f16_e32 v12, -0.5, v87
	v_fmac_f16_e32 v18, 0x3b9c, v29
	v_add_f16_e32 v87, v42, v0
	v_fmac_f16_e32 v81, 0x34f2, v14
	v_fmac_f16_e32 v79, 0xb8b4, v84
	v_add_f16_e32 v38, v85, v86
	v_fmac_f16_e32 v37, 0x34f2, v14
	v_add_f16_e32 v14, v15, v43
	v_fmamk_f16 v15, v84, 0x3b9c, v12
	v_sub_f16_e32 v85, v32, v88
	v_sub_f16_e32 v86, v40, v43
	v_fmac_f16_e32 v18, 0x38b4, v84
	v_add_f16_e32 v89, v1, v2
	v_fmac_f16_e32 v12, 0xbb9c, v84
	v_add_f16_e32 v84, v87, v1
	;; [unrolled: 2-line block ×3, first 2 shown]
	v_fma_f16 v86, -0.5, v89, v42
	v_sub_f16_e32 v43, v88, v43
	v_fmac_f16_e32 v12, 0x38b4, v29
	v_add_f16_e32 v29, v84, v2
	v_add_f16_e32 v84, v0, v3
	v_fmac_f16_e32 v79, 0x34f2, v38
	v_fmac_f16_e32 v18, 0x34f2, v38
	v_fmamk_f16 v38, v43, 0x3b9c, v86
	v_sub_f16_e32 v32, v32, v40
	v_sub_f16_e32 v40, v0, v1
	;; [unrolled: 1-line block ×3, first 2 shown]
	v_fmac_f16_e32 v42, -0.5, v84
	v_fmac_f16_e32 v86, 0xbb9c, v43
	v_sub_f16_e32 v0, v1, v0
	v_sub_f16_e32 v1, v2, v3
	v_add_f16_e32 v2, v39, v17
	v_add_f16_e32 v29, v29, v3
	v_fmac_f16_e32 v38, 0x38b4, v32
	v_add_f16_e32 v40, v40, v87
	v_fmamk_f16 v84, v32, 0xbb9c, v42
	v_fmac_f16_e32 v86, 0xb8b4, v32
	v_add_f16_e32 v0, v0, v1
	v_fmac_f16_e32 v42, 0x3b9c, v32
	v_add_f16_e32 v1, v13, v30
	v_fma_f16 v2, -0.5, v2, v13
	v_sub_f16_e32 v3, v4, v7
	v_fmac_f16_e32 v15, 0x34f2, v85
	v_fmac_f16_e32 v12, 0x34f2, v85
	;; [unrolled: 1-line block ×6, first 2 shown]
	v_add_f16_e32 v1, v1, v39
	v_fmamk_f16 v32, v3, 0xbb9c, v2
	v_sub_f16_e32 v40, v5, v6
	v_sub_f16_e32 v43, v30, v39
	;; [unrolled: 1-line block ×3, first 2 shown]
	v_fmac_f16_e32 v2, 0x3b9c, v3
	v_add_f16_e32 v87, v30, v34
	v_lshrrev_b32_e32 v82, 16, v13
	v_add_f16_e32 v1, v1, v17
	v_fmac_f16_e32 v32, 0xb8b4, v40
	v_add_f16_e32 v43, v43, v85
	v_fmac_f16_e32 v2, 0x38b4, v40
	v_fmac_f16_e32 v13, -0.5, v87
	v_sub_f16_e32 v85, v39, v30
	v_sub_f16_e32 v87, v17, v34
	v_fmac_f16_e32 v84, 0x34f2, v0
	v_fmac_f16_e32 v42, 0x34f2, v0
	v_add_f16_e32 v0, v1, v34
	v_fmac_f16_e32 v32, 0x34f2, v43
	v_fmac_f16_e32 v2, 0x34f2, v43
	v_fmamk_f16 v1, v40, 0x3b9c, v13
	v_add_f16_e32 v43, v5, v6
	v_fmac_f16_e32 v13, 0xbb9c, v40
	v_sub_f16_e32 v30, v30, v34
	v_add_f16_e32 v34, v85, v87
	v_add_f16_e32 v85, v4, v7
	;; [unrolled: 1-line block ×3, first 2 shown]
	v_fma_f16 v43, -0.5, v43, v82
	v_fmac_f16_e32 v1, 0xb8b4, v3
	v_fmac_f16_e32 v13, 0x38b4, v3
	v_sub_f16_e32 v17, v39, v17
	v_fmac_f16_e32 v82, -0.5, v85
	v_add_f16_e32 v3, v40, v5
	v_fmac_f16_e32 v1, 0x34f2, v34
	v_fmac_f16_e32 v13, 0x34f2, v34
	v_sub_f16_e32 v34, v4, v5
	v_fmamk_f16 v85, v17, 0xbb9c, v82
	v_sub_f16_e32 v4, v5, v4
	v_sub_f16_e32 v5, v6, v7
	v_fmac_f16_e32 v82, 0x3b9c, v17
	v_fmamk_f16 v40, v30, 0x3b9c, v43
	v_sub_f16_e32 v39, v7, v6
	v_fmac_f16_e32 v43, 0xbb9c, v30
	v_fmac_f16_e32 v85, 0x38b4, v30
	v_add_f16_e32 v4, v4, v5
	v_fmac_f16_e32 v82, 0xb8b4, v30
	v_add_f16_e32 v3, v3, v6
	;; [unrolled: 2-line block ×3, first 2 shown]
	v_fmac_f16_e32 v43, 0xb8b4, v17
	v_fmac_f16_e32 v85, 0x34f2, v4
	;; [unrolled: 1-line block ×3, first 2 shown]
	v_pack_b32_f16 v4, v33, v41
	v_pack_b32_f16 v5, v35, v44
	v_add_f16_e32 v3, v3, v7
	v_fmac_f16_e32 v40, 0x34f2, v6
	v_fmac_f16_e32 v43, 0x34f2, v6
	v_pack_b32_f16 v6, v36, v81
	v_pack_b32_f16 v7, v11, v37
	;; [unrolled: 1-line block ×4, first 2 shown]
	ds_store_2addr_b32 v46, v4, v5 offset1:13
	ds_store_2addr_b32 v46, v6, v7 offset0:26 offset1:39
	ds_store_2addr_b32 v46, v11, v14 offset0:52 offset1:65
	v_pack_b32_f16 v4, v79, v38
	v_pack_b32_f16 v5, v15, v84
	;; [unrolled: 1-line block ×9, first 2 shown]
	ds_store_2addr_b32 v46, v4, v5 offset0:78 offset1:91
	ds_store_2addr_b32 v46, v6, v7 offset0:104 offset1:117
	;; [unrolled: 1-line block ×4, first 2 shown]
	ds_store_b32 v94, v2 offset:728
	global_wb scope:SCOPE_SE
	s_wait_dscnt 0x0
	s_barrier_signal -1
	s_barrier_wait -1
	global_inv scope:SCOPE_SE
	ds_load_2addr_b32 v[0:1], v46 offset1:13
	ds_load_2addr_b32 v[2:3], v46 offset0:52 offset1:65
	ds_load_2addr_b32 v[4:5], v46 offset0:130 offset1:143
	;; [unrolled: 1-line block ×6, first 2 shown]
	ds_load_b32 v17, v46 offset:728
	s_wait_dscnt 0x7
	v_lshrrev_b32_e32 v18, 16, v0
	s_wait_dscnt 0x6
	v_lshrrev_b32_e32 v29, 16, v3
	;; [unrolled: 2-line block ×4, first 2 shown]
	v_mul_f16_e32 v44, v104, v3
	v_lshrrev_b32_e32 v34, 16, v5
	v_mul_f16_e32 v42, v104, v29
	v_mul_f16_e32 v81, v103, v30
	v_lshrrev_b32_e32 v36, 16, v7
	s_wait_dscnt 0x2
	v_lshrrev_b32_e32 v37, 16, v13
	s_wait_dscnt 0x1
	v_lshrrev_b32_e32 v39, 16, v15
	v_fmac_f16_e32 v42, v23, v3
	v_mul_f16_e32 v3, v103, v4
	v_fma_f16 v23, v23, v29, -v44
	v_mul_f16_e32 v29, v102, v33
	v_fmac_f16_e32 v81, v24, v4
	v_mul_f16_e32 v4, v102, v6
	v_fma_f16 v3, v24, v30, -v3
	v_mul_f16_e32 v24, v101, v34
	;; [unrolled: 4-line block ×4, first 2 shown]
	v_lshrrev_b32_e32 v40, 16, v14
	v_fmac_f16_e32 v25, v27, v7
	v_mul_f16_e32 v7, v99, v13
	v_lshrrev_b32_e32 v43, 16, v16
	v_fma_f16 v5, v27, v36, -v5
	v_mul_f16_e32 v27, v98, v39
	v_fmac_f16_e32 v26, v28, v13
	v_mul_f16_e32 v13, v98, v15
	v_fma_f16 v7, v28, v37, -v7
	v_mul_f16_e32 v28, v97, v40
	s_wait_dscnt 0x0
	v_lshrrev_b32_e32 v79, 16, v17
	v_fmac_f16_e32 v27, v21, v15
	v_mul_f16_e32 v15, v97, v14
	v_fma_f16 v13, v21, v39, -v13
	v_mul_f16_e32 v21, v96, v43
	v_fmac_f16_e32 v28, v22, v14
	v_mul_f16_e32 v14, v96, v16
	v_fma_f16 v15, v22, v40, -v15
	v_mul_f16_e32 v22, v95, v79
	v_fmac_f16_e32 v21, v19, v16
	v_mul_f16_e32 v16, v95, v17
	v_fma_f16 v14, v19, v43, -v14
	v_add_f16_e32 v19, v42, v81
	v_fmac_f16_e32 v22, v20, v17
	v_add_f16_e32 v17, v0, v42
	v_fma_f16 v16, v20, v79, -v16
	v_add_f16_e32 v20, v23, v3
	v_fma_f16 v0, -0.5, v19, v0
	v_sub_f16_e32 v19, v23, v3
	v_add_f16_e32 v23, v18, v23
	v_lshrrev_b32_e32 v32, 16, v1
	v_fmac_f16_e32 v18, -0.5, v20
	v_sub_f16_e32 v20, v42, v81
	v_fmamk_f16 v30, v19, 0xbaee, v0
	v_fmac_f16_e32 v0, 0x3aee, v19
	v_add_f16_e32 v19, v29, v24
	v_add_f16_e32 v3, v23, v3
	v_fmamk_f16 v23, v20, 0x3aee, v18
	v_fmac_f16_e32 v18, 0xbaee, v20
	v_add_f16_e32 v20, v4, v6
	v_add_f16_e32 v33, v1, v29
	v_fmac_f16_e32 v1, -0.5, v19
	v_sub_f16_e32 v19, v4, v6
	v_add_f16_e32 v4, v32, v4
	v_fmac_f16_e32 v32, -0.5, v20
	v_sub_f16_e32 v20, v29, v24
	v_lshrrev_b32_e32 v35, 16, v11
	v_add_f16_e32 v33, v33, v24
	v_add_f16_e32 v4, v4, v6
	;; [unrolled: 1-line block ×3, first 2 shown]
	v_fmamk_f16 v24, v19, 0xbaee, v1
	v_fmac_f16_e32 v1, 0x3aee, v19
	v_fmamk_f16 v19, v20, 0x3aee, v32
	v_fmac_f16_e32 v32, 0xbaee, v20
	v_add_f16_e32 v20, v5, v7
	v_add_f16_e32 v29, v11, v25
	v_fma_f16 v6, -0.5, v6, v11
	v_sub_f16_e32 v11, v5, v7
	v_add_f16_e32 v5, v35, v5
	v_fmac_f16_e32 v35, -0.5, v20
	v_sub_f16_e32 v20, v25, v26
	v_lshrrev_b32_e32 v38, 16, v12
	v_fmamk_f16 v25, v11, 0xbaee, v6
	v_add_f16_e32 v5, v5, v7
	v_add_f16_e32 v7, v27, v28
	v_fmac_f16_e32 v6, 0x3aee, v11
	v_fmamk_f16 v11, v20, 0x3aee, v35
	v_fmac_f16_e32 v35, 0xbaee, v20
	v_add_f16_e32 v20, v13, v15
	v_add_f16_e32 v29, v29, v26
	;; [unrolled: 1-line block ×3, first 2 shown]
	v_fmac_f16_e32 v12, -0.5, v7
	v_sub_f16_e32 v7, v13, v15
	v_add_f16_e32 v13, v38, v13
	v_fmac_f16_e32 v38, -0.5, v20
	v_sub_f16_e32 v20, v27, v28
	v_lshrrev_b32_e32 v41, 16, v2
	v_fmamk_f16 v27, v7, 0xbaee, v12
	v_fmac_f16_e32 v12, 0x3aee, v7
	v_add_f16_e32 v7, v13, v15
	v_add_f16_e32 v13, v21, v22
	v_fmamk_f16 v15, v20, 0x3aee, v38
	v_fmac_f16_e32 v38, 0xbaee, v20
	v_add_f16_e32 v20, v14, v16
	v_add_f16_e32 v17, v17, v81
	;; [unrolled: 1-line block ×4, first 2 shown]
	v_fmac_f16_e32 v2, -0.5, v13
	v_sub_f16_e32 v13, v14, v16
	v_add_f16_e32 v14, v41, v14
	v_fmac_f16_e32 v41, -0.5, v20
	v_sub_f16_e32 v20, v21, v22
	v_add_f16_e32 v21, v28, v22
	v_fmamk_f16 v22, v13, 0xbaee, v2
	v_fmac_f16_e32 v2, 0x3aee, v13
	v_add_f16_e32 v13, v14, v16
	v_pack_b32_f16 v3, v17, v3
	v_pack_b32_f16 v16, v30, v23
	v_pack_b32_f16 v17, v24, v19
	v_pack_b32_f16 v0, v0, v18
	v_pack_b32_f16 v1, v1, v32
	v_fmamk_f16 v14, v20, 0x3aee, v41
	v_fmac_f16_e32 v41, 0xbaee, v20
	ds_store_b32 v46, v3
	v_pack_b32_f16 v3, v33, v4
	ds_store_2addr_b32 v80, v16, v17 offset0:65 offset1:78
	ds_store_2addr_b32 v80, v0, v1 offset0:130 offset1:143
	v_pack_b32_f16 v0, v29, v5
	v_pack_b32_f16 v1, v25, v11
	;; [unrolled: 1-line block ×9, first 2 shown]
	ds_store_2addr_b32 v80, v3, v0 offset0:13 offset1:26
	ds_store_2addr_b32 v80, v1, v6 offset0:91 offset1:104
	;; [unrolled: 1-line block ×5, first 2 shown]
	global_wb scope:SCOPE_SE
	s_wait_dscnt 0x0
	s_barrier_signal -1
	s_barrier_wait -1
	global_inv scope:SCOPE_SE
	ds_load_2addr_b32 v[0:1], v46 offset1:15
	s_wait_dscnt 0x0
	v_lshrrev_b32_e32 v4, 16, v0
	s_delay_alu instid0(VALU_DEP_1) | instskip(NEXT) | instid1(VALU_DEP_1)
	v_mul_f16_e32 v2, v78, v4
	v_fmac_f16_e32 v2, v76, v0
	v_mul_f16_e32 v0, v78, v0
	s_delay_alu instid0(VALU_DEP_2) | instskip(NEXT) | instid1(VALU_DEP_2)
	v_cvt_f32_f16_e32 v2, v2
	v_fma_f16 v0, v76, v4, -v0
	s_delay_alu instid0(VALU_DEP_2) | instskip(NEXT) | instid1(VALU_DEP_2)
	v_cvt_f64_f32_e32 v[2:3], v2
	v_cvt_f32_f16_e32 v0, v0
	s_delay_alu instid0(VALU_DEP_1) | instskip(SKIP_1) | instid1(VALU_DEP_1)
	v_cvt_f64_f32_e32 v[4:5], v0
	v_lshrrev_b32_e32 v0, 16, v1
	v_mul_f16_e32 v6, v77, v0
	s_delay_alu instid0(VALU_DEP_1) | instskip(SKIP_1) | instid1(VALU_DEP_2)
	v_fmac_f16_e32 v6, v74, v1
	v_mul_f16_e32 v1, v77, v1
	v_cvt_f32_f16_e32 v6, v6
	s_delay_alu instid0(VALU_DEP_2) | instskip(NEXT) | instid1(VALU_DEP_1)
	v_fma_f16 v0, v74, v0, -v1
	v_cvt_f32_f16_e32 v0, v0
	s_wait_alu 0xfffe
	v_mul_f64_e32 v[2:3], s[8:9], v[2:3]
	v_mul_f64_e32 v[4:5], s[8:9], v[4:5]
	s_delay_alu instid0(VALU_DEP_2) | instskip(SKIP_2) | instid1(VALU_DEP_3)
	v_and_or_b32 v2, 0x1ff, v3, v2
	v_lshrrev_b32_e32 v7, 8, v3
	v_bfe_u32 v11, v3, 20, 11
	v_cmp_ne_u32_e64 s0, 0, v2
	v_bfe_u32 v17, v5, 20, 11
	s_delay_alu instid0(VALU_DEP_3) | instskip(SKIP_1) | instid1(VALU_DEP_3)
	v_add_nc_u32_e32 v16, 0xfffffc10, v11
	s_wait_alu 0xf1ff
	v_cndmask_b32_e64 v2, 0, 1, s0
	s_delay_alu instid0(VALU_DEP_1) | instskip(SKIP_2) | instid1(VALU_DEP_3)
	v_and_or_b32 v15, 0xffe, v7, v2
	v_sub_nc_u32_e32 v2, 0x3f1, v11
	v_cvt_f64_f32_e32 v[6:7], v6
	v_or_b32_e32 v12, 0x1000, v15
	s_delay_alu instid0(VALU_DEP_3) | instskip(SKIP_1) | instid1(VALU_DEP_2)
	v_med3_i32 v2, v2, 0, 13
	v_lshl_or_b32 v11, v16, 12, v15
	v_lshrrev_b32_e32 v13, v2, v12
	s_delay_alu instid0(VALU_DEP_1) | instskip(NEXT) | instid1(VALU_DEP_1)
	v_lshlrev_b32_e32 v2, v2, v13
	v_cmp_ne_u32_e64 s0, v2, v12
	v_and_or_b32 v2, 0x1ff, v5, v4
	v_lshrrev_b32_e32 v12, 8, v5
	s_wait_alu 0xf1ff
	s_delay_alu instid0(VALU_DEP_3) | instskip(NEXT) | instid1(VALU_DEP_3)
	v_cndmask_b32_e64 v1, 0, 1, s0
	v_cmp_ne_u32_e64 s0, 0, v2
	s_delay_alu instid0(VALU_DEP_2) | instskip(SKIP_1) | instid1(VALU_DEP_2)
	v_or_b32_e32 v4, v13, v1
	s_wait_alu 0xf1ff
	v_cndmask_b32_e64 v2, 0, 1, s0
	v_cmp_gt_i32_e64 s0, 1, v16
	v_cvt_f64_f32_e32 v[0:1], v0
	s_delay_alu instid0(VALU_DEP_3)
	v_and_or_b32 v18, 0xffe, v12, v2
	v_sub_nc_u32_e32 v2, 0x3f1, v17
	s_wait_alu 0xf1ff
	v_cndmask_b32_e64 v4, v11, v4, s0
	v_mul_f64_e32 v[6:7], s[8:9], v[6:7]
	ds_load_2addr_b32 v[11:12], v46 offset0:30 offset1:45
	v_or_b32_e32 v19, 0x1000, v18
	v_med3_i32 v2, v2, 0, 13
	v_and_b32_e32 v13, 7, v4
	v_lshrrev_b32_e32 v4, 2, v4
	v_add_nc_u32_e32 v17, 0xfffffc10, v17
	s_delay_alu instid0(VALU_DEP_4) | instskip(NEXT) | instid1(VALU_DEP_4)
	v_lshrrev_b32_e32 v20, v2, v19
	v_cmp_lt_i32_e64 s0, 5, v13
	v_cmp_eq_u32_e64 s1, 3, v13
	v_mad_co_u64_u32 v[13:14], null, s6, v10, 0
	s_delay_alu instid0(VALU_DEP_4) | instskip(NEXT) | instid1(VALU_DEP_3)
	v_lshlrev_b32_e32 v2, v2, v20
	s_or_b32 s0, s1, s0
	s_wait_alu 0xfffe
	v_add_co_ci_u32_e64 v4, s0, 0, v4, s0
	s_delay_alu instid0(VALU_DEP_2) | instskip(NEXT) | instid1(VALU_DEP_4)
	v_cmp_ne_u32_e64 s0, v2, v19
	v_mov_b32_e32 v2, v14
	s_wait_alu 0xf1ff
	s_delay_alu instid0(VALU_DEP_2) | instskip(SKIP_1) | instid1(VALU_DEP_2)
	v_cndmask_b32_e64 v19, 0, 1, s0
	v_cmp_gt_i32_e64 s0, 31, v16
	v_or_b32_e32 v14, v20, v19
	s_wait_alu 0xf1ff
	s_delay_alu instid0(VALU_DEP_2)
	v_cndmask_b32_e64 v4, 0x7c00, v4, s0
	v_cmp_ne_u32_e64 s0, 0, v15
	v_lshl_or_b32 v20, v17, 12, v18
	s_wait_dscnt 0x0
	v_lshrrev_b32_e32 v19, 16, v11
	v_mul_f64_e32 v[0:1], s[8:9], v[0:1]
	s_wait_alu 0xf1ff
	v_cndmask_b32_e64 v15, 0, 1, s0
	v_cmp_gt_i32_e64 s0, 1, v17
	v_mul_f16_e32 v21, v75, v19
	v_and_or_b32 v6, 0x1ff, v7, v6
	s_delay_alu instid0(VALU_DEP_4)
	v_lshl_or_b32 v22, v15, 9, 0x7c00
	s_wait_alu 0xf1ff
	v_cndmask_b32_e64 v20, v20, v14, s0
	v_mad_co_u64_u32 v[14:15], null, s7, v10, v[2:3]
	v_cmp_eq_u32_e64 s0, 0x40f, v16
	v_fmac_f16_e32 v21, v72, v11
	s_delay_alu instid0(VALU_DEP_4)
	v_and_b32_e32 v2, 7, v20
	v_lshrrev_b32_e32 v15, 2, v20
	v_lshrrev_b32_e32 v10, 16, v3
	s_wait_alu 0xf1ff
	v_cndmask_b32_e64 v4, v4, v22, s0
	v_cvt_f32_f16_e32 v3, v21
	v_cmp_lt_i32_e64 s0, 5, v2
	v_cmp_eq_u32_e64 s1, 3, v2
	v_cmp_ne_u32_e64 s2, 0, v6
	v_lshrrev_b32_e32 v16, 8, v7
	v_cvt_f64_f32_e32 v[2:3], v3
	v_bfe_u32 v20, v7, 20, 11
	s_or_b32 s0, s1, s0
	v_cndmask_b32_e64 v6, 0, 1, s2
	s_wait_alu 0xfffe
	v_add_co_ci_u32_e64 v15, s0, 0, v15, s0
	v_cmp_ne_u32_e64 s0, 0, v18
	v_and_or_b32 v24, 0x8000, v10, v4
	v_and_or_b32 v6, 0xffe, v16, v6
	v_sub_nc_u32_e32 v16, 0x3f1, v20
	v_add_nc_u32_e32 v20, 0xfffffc10, v20
	s_wait_alu 0xf1ff
	v_cndmask_b32_e64 v18, 0, 1, s0
	v_cmp_gt_i32_e64 s0, 31, v17
	v_or_b32_e32 v22, 0x1000, v6
	v_med3_i32 v23, v16, 0, 13
	s_mul_u64 s[6:7], s[4:5], 60
	v_lshl_or_b32 v18, v18, 9, 0x7c00
	s_wait_alu 0xf1ff
	v_cndmask_b32_e64 v21, 0x7c00, v15, s0
	v_mad_co_u64_u32 v[15:16], null, s4, v71, 0
	v_and_or_b32 v4, 0x1ff, v1, v0
	s_delay_alu instid0(VALU_DEP_2) | instskip(SKIP_2) | instid1(VALU_DEP_1)
	v_mov_b32_e32 v0, v16
	v_cmp_eq_u32_e64 s0, 0x40f, v17
	s_wait_alu 0xf1ff
	v_cndmask_b32_e64 v17, v21, v18, s0
	v_lshrrev_b32_e32 v18, v23, v22
	v_lshrrev_b32_e32 v21, 16, v5
	v_mul_f16_e32 v5, v75, v11
	v_cmp_ne_u32_e64 s0, 0, v4
	v_lshrrev_b32_e32 v11, 8, v1
	v_lshlrev_b32_e32 v10, v23, v18
	s_delay_alu instid0(VALU_DEP_4)
	v_fma_f16 v5, v72, v19, -v5
	s_wait_alu 0xf1ff
	v_cndmask_b32_e64 v4, 0, 1, s0
	v_bfe_u32 v19, v1, 20, 11
	v_cmp_ne_u32_e64 s0, v10, v22
	v_cvt_f32_f16_e32 v10, v5
	s_delay_alu instid0(VALU_DEP_4)
	v_and_or_b32 v22, 0xffe, v11, v4
	v_mul_f64_e32 v[4:5], s[8:9], v[2:3]
	s_wait_alu 0xf1ff
	v_cndmask_b32_e64 v16, 0, 1, s0
	v_sub_nc_u32_e32 v23, 0x3f1, v19
	v_cvt_f64_f32_e32 v[10:11], v10
	v_cmp_gt_i32_e64 s0, 1, v20
	v_or_b32_e32 v25, 0x1000, v22
	v_or_b32_e32 v16, v18, v16
	v_lshl_or_b32 v18, v20, 12, v6
	v_med3_i32 v23, v23, 0, 13
	v_mad_co_u64_u32 v[2:3], null, s5, v71, v[0:1]
	v_and_or_b32 v3, 0x8000, v21, v17
	s_wait_alu 0xf1ff
	v_cndmask_b32_e64 v0, v18, v16, s0
	v_lshrrev_b32_e32 v17, v23, v25
	v_and_b32_e32 v18, 0xffff, v24
	v_add_nc_u32_e32 v19, 0xfffffc10, v19
	s_delay_alu instid0(VALU_DEP_4) | instskip(NEXT) | instid1(VALU_DEP_4)
	v_dual_mov_b32 v16, v2 :: v_dual_and_b32 v21, 7, v0
	v_lshlrev_b32_e32 v23, v23, v17
	v_lshrrev_b32_e32 v0, 2, v0
	v_lshl_or_b32 v18, v3, 16, v18
	s_delay_alu instid0(VALU_DEP_4) | instskip(SKIP_4) | instid1(VALU_DEP_4)
	v_cmp_lt_i32_e64 s0, 5, v21
	v_cmp_eq_u32_e64 s1, 3, v21
	v_cmp_ne_u32_e64 s2, v23, v25
	v_lshlrev_b64_e32 v[2:3], 2, v[13:14]
	v_lshl_or_b32 v14, v19, 12, v22
	s_or_b32 s0, s1, s0
	s_delay_alu instid0(VALU_DEP_3)
	v_cndmask_b32_e64 v13, 0, 1, s2
	s_wait_alu 0xfffe
	v_add_co_ci_u32_e64 v0, s0, 0, v0, s0
	v_cmp_ne_u32_e64 s0, 0, v6
	v_add_co_u32 v2, s2, s10, v2
	v_or_b32_e32 v13, v17, v13
	v_lshrrev_b32_e32 v17, 16, v12
	s_wait_alu 0xf1ff
	v_cndmask_b32_e64 v6, 0, 1, s0
	v_cmp_gt_i32_e64 s0, 1, v19
	v_and_or_b32 v4, 0x1ff, v5, v4
	v_bfe_u32 v24, v5, 20, 11
	v_mul_f64_e32 v[10:11], s[8:9], v[10:11]
	v_mul_f16_e32 v21, v73, v17
	s_wait_alu 0xf1ff
	v_cndmask_b32_e64 v13, v14, v13, s0
	v_cmp_gt_i32_e64 s0, 31, v20
	v_lshl_or_b32 v6, v6, 9, 0x7c00
	v_lshrrev_b32_e32 v23, 8, v5
	v_fmac_f16_e32 v21, v69, v12
	v_and_b32_e32 v14, 7, v13
	s_wait_alu 0xf1ff
	v_cndmask_b32_e64 v0, 0x7c00, v0, s0
	v_cmp_ne_u32_e64 s0, 0, v4
	v_mul_f16_e32 v12, v73, v12
	v_add_co_ci_u32_e64 v3, s2, s11, v3, s2
	v_cmp_eq_u32_e64 s1, 3, v14
	s_wait_alu 0xf1ff
	v_cndmask_b32_e64 v4, 0, 1, s0
	v_cmp_eq_u32_e64 s0, 0x40f, v20
	v_cvt_f32_f16_e32 v20, v21
	v_lshrrev_b32_e32 v21, 2, v13
	v_fma_f16 v12, v69, v17, -v12
	v_and_or_b32 v4, 0xffe, v23, v4
	s_wait_alu 0xf1ff
	v_cndmask_b32_e64 v0, v0, v6, s0
	v_cmp_lt_i32_e64 s0, 5, v14
	v_sub_nc_u32_e32 v6, 0x3f1, v24
	v_cvt_f64_f32_e32 v[13:14], v20
	v_or_b32_e32 v23, 0x1000, v4
	v_cvt_f32_f16_e32 v12, v12
	s_or_b32 s0, s1, s0
	v_med3_i32 v25, v6, 0, 13
	s_wait_alu 0xfffe
	v_add_co_ci_u32_e64 v6, s0, 0, v21, s0
	v_cmp_ne_u32_e64 s0, 0, v22
	v_lshrrev_b32_e32 v21, 16, v7
	v_lshrrev_b32_e32 v22, v25, v23
	s_wait_alu 0xf1ff
	s_delay_alu instid0(VALU_DEP_3) | instskip(SKIP_1) | instid1(VALU_DEP_2)
	v_cndmask_b32_e64 v20, 0, 1, s0
	v_cmp_gt_i32_e64 s0, 31, v19
	v_lshl_or_b32 v20, v20, 9, 0x7c00
	s_wait_alu 0xf1ff
	s_delay_alu instid0(VALU_DEP_2)
	v_cndmask_b32_e64 v26, 0x7c00, v6, s0
	v_lshlrev_b64_e32 v[6:7], 2, v[15:16]
	v_and_or_b32 v15, 0x8000, v21, v0
	v_lshlrev_b32_e32 v0, v25, v22
	v_cmp_eq_u32_e64 s0, 0x40f, v19
	v_lshrrev_b32_e32 v19, 16, v1
	v_and_or_b32 v1, 0x1ff, v11, v10
	v_add_nc_u32_e32 v10, 0xfffffc10, v24
	v_bfe_u32 v21, v11, 20, 11
	s_wait_alu 0xf1ff
	v_cndmask_b32_e64 v16, v26, v20, s0
	v_cmp_ne_u32_e64 s0, v0, v23
	v_lshrrev_b32_e32 v20, 8, v11
	v_lshl_or_b32 v17, v10, 12, v4
	s_delay_alu instid0(VALU_DEP_4) | instskip(SKIP_4) | instid1(VALU_DEP_3)
	v_and_or_b32 v16, 0x8000, v19, v16
	s_wait_alu 0xf1ff
	v_cndmask_b32_e64 v0, 0, 1, s0
	v_cmp_ne_u32_e64 s0, 0, v1
	v_and_b32_e32 v19, 0xffff, v15
	v_or_b32_e32 v0, v22, v0
	s_wait_alu 0xf1ff
	s_delay_alu instid0(VALU_DEP_3) | instskip(SKIP_2) | instid1(VALU_DEP_3)
	v_cndmask_b32_e64 v1, 0, 1, s0
	v_cmp_gt_i32_e64 s0, 1, v10
	v_lshl_or_b32 v19, v16, 16, v19
	v_and_or_b32 v20, 0xffe, v20, v1
	v_sub_nc_u32_e32 v1, 0x3f1, v21
	s_wait_alu 0xf1ff
	v_cndmask_b32_e64 v17, v17, v0, s0
	v_add_co_u32 v6, s0, v2, v6
	v_or_b32_e32 v22, 0x1000, v20
	v_med3_i32 v23, v1, 0, 13
	v_cvt_f64_f32_e32 v[0:1], v12
	v_mul_f64_e32 v[12:13], s[8:9], v[13:14]
	v_and_b32_e32 v24, 7, v17
	ds_load_2addr_b32 v[14:15], v46 offset0:60 offset1:75
	v_lshrrev_b32_e32 v25, v23, v22
	s_wait_alu 0xf1ff
	v_add_co_ci_u32_e64 v7, s0, v3, v7, s0
	v_cmp_lt_i32_e64 s0, 5, v24
	v_cmp_eq_u32_e64 s1, 3, v24
	v_lshrrev_b32_e32 v16, 2, v17
	v_lshlrev_b32_e32 v23, v23, v25
	v_add_nc_u32_e32 v21, 0xfffffc10, v21
	v_lshrrev_b32_e32 v24, 16, v5
	s_or_b32 s0, s1, s0
	s_wait_alu 0xfffe
	v_add_co_ci_u32_e64 v16, s0, 0, v16, s0
	v_cmp_ne_u32_e64 s2, v23, v22
	v_cmp_ne_u32_e64 s0, 0, v4
	v_lshl_or_b32 v22, v21, 12, v20
	s_wait_alu 0xf1ff
	s_delay_alu instid0(VALU_DEP_3) | instskip(NEXT) | instid1(VALU_DEP_3)
	v_cndmask_b32_e64 v17, 0, 1, s2
	v_cndmask_b32_e64 v4, 0, 1, s0
	v_cmp_gt_i32_e64 s0, 31, v10
	s_wait_dscnt 0x0
	v_lshrrev_b32_e32 v23, 16, v14
	v_or_b32_e32 v17, v25, v17
	v_lshl_or_b32 v4, v4, 9, 0x7c00
	s_wait_alu 0xf1ff
	v_cndmask_b32_e64 v16, 0x7c00, v16, s0
	v_cmp_gt_i32_e64 s0, 1, v21
	s_wait_alu 0xf1ff
	s_delay_alu instid0(VALU_DEP_1)
	v_cndmask_b32_e64 v17, v22, v17, s0
	v_mul_f16_e32 v22, v70, v23
	v_cmp_eq_u32_e64 s0, 0x40f, v10
	v_mul_f64_e32 v[0:1], s[8:9], v[0:1]
	v_and_or_b32 v5, 0x1ff, v13, v12
	v_lshrrev_b32_e32 v10, 2, v17
	v_fmac_f16_e32 v22, v67, v14
	s_wait_alu 0xf1ff
	v_cndmask_b32_e64 v16, v16, v4, s0
	v_and_b32_e32 v4, 7, v17
	v_cmp_ne_u32_e64 s2, 0, v5
	v_lshrrev_b32_e32 v17, 8, v13
	v_mul_f16_e32 v14, v70, v14
	s_delay_alu instid0(VALU_DEP_4)
	v_cmp_lt_i32_e64 s0, 5, v4
	v_cmp_eq_u32_e64 s1, 3, v4
	v_cvt_f32_f16_e32 v4, v22
	s_wait_alu 0xf1ff
	v_cndmask_b32_e64 v12, 0, 1, s2
	v_bfe_u32 v22, v13, 20, 11
	v_fma_f16 v14, v67, v23, -v14
	s_or_b32 s0, s1, s0
	v_cvt_f64_f32_e32 v[4:5], v4
	v_and_or_b32 v12, 0xffe, v17, v12
	v_sub_nc_u32_e32 v17, 0x3f1, v22
	s_wait_alu 0xfffe
	v_add_co_ci_u32_e64 v10, s0, 0, v10, s0
	v_cmp_ne_u32_e64 s0, 0, v20
	v_or_b32_e32 v25, 0x1000, v12
	v_med3_i32 v17, v17, 0, 13
	v_cvt_f32_f16_e32 v14, v14
	v_and_or_b32 v23, 0x8000, v24, v16
	s_wait_alu 0xf1ff
	v_cndmask_b32_e64 v20, 0, 1, s0
	v_cmp_gt_i32_e64 s0, 31, v21
	v_lshrrev_b32_e32 v26, v17, v25
	v_add_nc_u32_e32 v22, 0xfffffc10, v22
	v_and_b32_e32 v23, 0xffff, v23
	v_lshl_or_b32 v20, v20, 9, 0x7c00
	s_wait_alu 0xf1ff
	v_cndmask_b32_e64 v10, 0x7c00, v10, s0
	v_cmp_eq_u32_e64 s0, 0x40f, v21
	v_lshlrev_b32_e32 v17, v17, v26
	v_lshrrev_b32_e32 v21, 16, v11
	v_and_or_b32 v0, 0x1ff, v1, v0
	s_wait_alu 0xf1ff
	v_cndmask_b32_e64 v20, v10, v20, s0
	v_add_co_u32 v10, s0, v6, s6
	s_wait_alu 0xf1ff
	v_add_co_ci_u32_e64 v11, s0, s7, v7, s0
	v_cmp_ne_u32_e64 s0, v17, v25
	v_and_or_b32 v20, 0x8000, v21, v20
	v_cvt_f64_f32_e32 v[16:17], v14
	v_lshrrev_b32_e32 v14, 8, v1
	v_bfe_u32 v24, v1, 20, 11
	s_wait_alu 0xf1ff
	v_cndmask_b32_e64 v21, 0, 1, s0
	v_cmp_ne_u32_e64 s0, 0, v0
	v_lshl_or_b32 v25, v22, 12, v12
	s_clause 0x1
	global_store_b32 v[6:7], v18, off
	global_store_b32 v[10:11], v19, off
	v_lshl_or_b32 v18, v20, 16, v23
	v_or_b32_e32 v21, v26, v21
	s_wait_alu 0xf1ff
	v_cndmask_b32_e64 v0, 0, 1, s0
	v_mul_f64_e32 v[4:5], s[8:9], v[4:5]
	v_cmp_gt_i32_e64 s0, 1, v22
	v_lshrrev_b32_e32 v1, 16, v1
	s_delay_alu instid0(VALU_DEP_4)
	v_and_or_b32 v0, 0xffe, v14, v0
	v_sub_nc_u32_e32 v14, 0x3f1, v24
	s_wait_alu 0xf1ff
	v_cndmask_b32_e64 v21, v25, v21, s0
	v_add_co_u32 v6, s0, v10, s6
	v_or_b32_e32 v25, 0x1000, v0
	v_med3_i32 v14, v14, 0, 13
	s_delay_alu instid0(VALU_DEP_4)
	v_and_b32_e32 v19, 7, v21
	s_wait_alu 0xf1ff
	v_add_co_ci_u32_e64 v7, s0, s7, v11, s0
	v_lshrrev_b32_e32 v11, 2, v21
	v_lshrrev_b32_e32 v20, v14, v25
	v_cmp_lt_i32_e64 s0, 5, v19
	v_cmp_eq_u32_e64 s1, 3, v19
	v_add_nc_u32_e32 v19, 0xfffffc10, v24
	global_store_b32 v[6:7], v18, off
	v_lshlrev_b32_e32 v10, v14, v20
	v_lshrrev_b32_e32 v14, 16, v15
	s_or_b32 s0, s1, s0
	v_lshl_or_b32 v24, v19, 12, v0
	s_wait_alu 0xfffe
	v_add_co_ci_u32_e64 v23, s0, 0, v11, s0
	v_cmp_ne_u32_e64 s2, v10, v25
	v_cmp_gt_i32_e64 s0, 31, v22
	v_mul_f16_e32 v21, v68, v14
	s_wait_alu 0xf1ff
	s_delay_alu instid0(VALU_DEP_3) | instskip(NEXT) | instid1(VALU_DEP_3)
	v_cndmask_b32_e64 v10, 0, 1, s2
	v_cndmask_b32_e64 v23, 0x7c00, v23, s0
	v_cmp_gt_i32_e64 s0, 1, v19
	v_fmac_f16_e32 v21, v65, v15
	v_cmp_eq_u32_e64 s2, 0x40f, v22
	v_or_b32_e32 v20, v20, v10
	v_mul_f64_e32 v[10:11], s[8:9], v[16:17]
	v_and_or_b32 v4, 0x1ff, v5, v4
	v_cvt_f32_f16_e32 v16, v21
	v_bfe_u32 v25, v5, 20, 11
	s_wait_alu 0xf1ff
	v_cndmask_b32_e64 v20, v24, v20, s0
	v_cmp_ne_u32_e64 s0, 0, v12
	v_lshrrev_b32_e32 v24, 8, v5
	v_cvt_f64_f32_e32 v[16:17], v16
	v_mul_f16_e32 v15, v68, v15
	v_and_b32_e32 v21, 7, v20
	s_wait_alu 0xf1ff
	v_cndmask_b32_e64 v12, 0, 1, s0
	v_cmp_ne_u32_e64 s0, 0, v4
	v_lshrrev_b32_e32 v5, 16, v5
	v_cmp_eq_u32_e64 s1, 3, v21
	s_delay_alu instid0(VALU_DEP_4)
	v_lshl_or_b32 v12, v12, 9, 0x7c00
	s_wait_alu 0xf1ff
	v_cndmask_b32_e64 v4, 0, 1, s0
	v_cmp_lt_i32_e64 s0, 5, v21
	v_sub_nc_u32_e32 v21, 0x3f1, v25
	v_cndmask_b32_e64 v22, v23, v12, s2
	s_delay_alu instid0(VALU_DEP_4) | instskip(SKIP_1) | instid1(VALU_DEP_4)
	v_and_or_b32 v4, 0xffe, v24, v4
	v_lshrrev_b32_e32 v12, 2, v20
	v_med3_i32 v21, v21, 0, 13
	s_or_b32 s0, s1, s0
	v_lshrrev_b32_e32 v24, 16, v13
	v_or_b32_e32 v20, 0x1000, v4
	s_wait_alu 0xfffe
	v_add_co_ci_u32_e64 v12, s0, 0, v12, s0
	v_cmp_gt_i32_e64 s0, 31, v19
	v_and_or_b32 v22, 0x8000, v24, v22
	v_lshrrev_b32_e32 v23, v21, v20
	s_wait_alu 0xf1ff
	s_delay_alu instid0(VALU_DEP_3) | instskip(SKIP_1) | instid1(VALU_DEP_3)
	v_cndmask_b32_e64 v26, 0x7c00, v12, s0
	v_cmp_ne_u32_e64 s0, 0, v0
	v_lshlrev_b32_e32 v13, v21, v23
	v_fma_f16 v12, v65, v14, -v15
	v_and_or_b32 v10, 0x1ff, v11, v10
	v_lshrrev_b32_e32 v21, 8, v11
	s_wait_alu 0xf1ff
	v_cndmask_b32_e64 v0, 0, 1, s0
	v_cmp_ne_u32_e64 s0, v13, v20
	v_cvt_f32_f16_e32 v12, v12
	v_add_nc_u32_e32 v20, 0xfffffc10, v25
	v_bfe_u32 v25, v11, 20, 11
	v_lshl_or_b32 v0, v0, 9, 0x7c00
	s_wait_alu 0xf1ff
	v_cndmask_b32_e64 v14, 0, 1, s0
	v_cmp_ne_u32_e64 s0, 0, v10
	v_cvt_f64_f32_e32 v[12:13], v12
	v_and_b32_e32 v22, 0xffff, v22
	s_delay_alu instid0(VALU_DEP_4)
	v_or_b32_e32 v23, v23, v14
	s_wait_alu 0xf1ff
	v_cndmask_b32_e64 v10, 0, 1, s0
	v_mul_f64_e32 v[14:15], s[8:9], v[16:17]
	v_lshl_or_b32 v16, v20, 12, v4
	v_sub_nc_u32_e32 v17, 0x3f1, v25
	v_cmp_gt_i32_e64 s0, 1, v20
	v_and_or_b32 v10, 0xffe, v21, v10
	s_delay_alu instid0(VALU_DEP_3) | instskip(SKIP_1) | instid1(VALU_DEP_3)
	v_med3_i32 v27, v17, 0, 13
	s_wait_alu 0xf1ff
	v_cndmask_b32_e64 v21, v16, v23, s0
	s_delay_alu instid0(VALU_DEP_3)
	v_or_b32_e32 v23, 0x1000, v10
	v_cmp_eq_u32_e64 s0, 0x40f, v19
	ds_load_2addr_b32 v[16:17], v46 offset0:90 offset1:105
	v_and_b32_e32 v24, 7, v21
	v_lshrrev_b32_e32 v19, v27, v23
	s_wait_alu 0xf1ff
	v_cndmask_b32_e64 v0, v26, v0, s0
	s_delay_alu instid0(VALU_DEP_3) | instskip(SKIP_1) | instid1(VALU_DEP_3)
	v_cmp_lt_i32_e64 s0, 5, v24
	v_cmp_eq_u32_e64 s1, 3, v24
	v_and_or_b32 v18, 0x8000, v1, v0
	v_lshlrev_b32_e32 v0, v27, v19
	v_lshrrev_b32_e32 v1, 2, v21
	v_add_nc_u32_e32 v21, 0xfffffc10, v25
	s_or_b32 s0, s1, s0
	v_lshl_or_b32 v22, v18, 16, v22
	v_cmp_ne_u32_e64 s2, v0, v23
	s_wait_alu 0xfffe
	v_add_co_ci_u32_e64 v23, s0, 0, v1, s0
	v_cmp_ne_u32_e64 s0, 0, v4
	v_lshl_or_b32 v25, v21, 12, v10
	s_wait_alu 0xf1ff
	v_cndmask_b32_e64 v0, 0, 1, s2
	s_wait_dscnt 0x0
	v_lshrrev_b32_e32 v24, 16, v16
	v_cmp_eq_u32_e64 s2, 0x40f, v20
	v_cndmask_b32_e64 v4, 0, 1, s0
	v_cmp_gt_i32_e64 s0, 1, v21
	v_or_b32_e32 v19, v19, v0
	v_mul_f64_e32 v[0:1], s[8:9], v[12:13]
	v_mul_f16_e32 v12, v66, v24
	v_and_or_b32 v13, 0x1ff, v15, v14
	v_lshl_or_b32 v4, v4, 9, 0x7c00
	s_wait_alu 0xf1ff
	v_cndmask_b32_e64 v19, v25, v19, s0
	v_cmp_gt_i32_e64 s0, 31, v20
	v_fmac_f16_e32 v12, v63, v16
	v_lshrrev_b32_e32 v26, 8, v15
	v_bfe_u32 v27, v15, 20, 11
	v_lshrrev_b32_e32 v15, 16, v15
	s_wait_alu 0xf1ff
	v_cndmask_b32_e64 v14, 0x7c00, v23, s0
	v_cmp_ne_u32_e64 s0, 0, v13
	v_and_b32_e32 v23, 7, v19
	v_cvt_f32_f16_e32 v12, v12
	s_delay_alu instid0(VALU_DEP_4)
	v_cndmask_b32_e64 v4, v14, v4, s2
	s_wait_alu 0xf1ff
	v_cndmask_b32_e64 v25, 0, 1, s0
	v_cmp_lt_i32_e64 s0, 5, v23
	v_cmp_eq_u32_e64 s1, 3, v23
	v_cvt_f64_f32_e32 v[12:13], v12
	v_lshrrev_b32_e32 v14, 2, v19
	v_and_or_b32 v23, 0xffe, v26, v25
	v_sub_nc_u32_e32 v25, 0x3f1, v27
	s_or_b32 s0, s1, s0
	v_and_or_b32 v18, 0x8000, v5, v4
	s_wait_alu 0xfffe
	v_add_co_ci_u32_e64 v14, s0, 0, v14, s0
	v_or_b32_e32 v19, 0x1000, v23
	v_med3_i32 v20, v25, 0, 13
	v_cmp_ne_u32_e64 s0, 0, v10
	v_mul_f16_e32 v5, v66, v16
	v_and_b32_e32 v18, 0xffff, v18
	s_delay_alu instid0(VALU_DEP_4)
	v_lshrrev_b32_e32 v25, v20, v19
	s_wait_alu 0xf1ff
	v_cndmask_b32_e64 v10, 0, 1, s0
	v_cmp_gt_i32_e64 s0, 31, v21
	v_fma_f16 v5, v63, v24, -v5
	v_lshlrev_b32_e32 v4, v20, v25
	s_delay_alu instid0(VALU_DEP_4)
	v_lshl_or_b32 v10, v10, 9, 0x7c00
	s_wait_alu 0xf1ff
	v_cndmask_b32_e64 v14, 0x7c00, v14, s0
	v_cmp_eq_u32_e64 s0, 0x40f, v21
	v_and_or_b32 v0, 0x1ff, v1, v0
	v_lshrrev_b32_e32 v20, 16, v11
	v_bfe_u32 v16, v1, 20, 11
	v_cvt_f32_f16_e32 v11, v5
	s_wait_alu 0xf1ff
	v_cndmask_b32_e64 v14, v14, v10, s0
	v_cmp_ne_u32_e64 s0, v4, v19
	v_lshrrev_b32_e32 v10, 8, v1
	v_add_nc_u32_e32 v21, 0xfffffc10, v27
	v_sub_nc_u32_e32 v24, 0x3f1, v16
	v_and_or_b32 v14, 0x8000, v20, v14
	s_wait_alu 0xf1ff
	v_cndmask_b32_e64 v4, 0, 1, s0
	v_cmp_ne_u32_e64 s0, 0, v0
	v_add_nc_u32_e32 v16, 0xfffffc10, v16
	s_delay_alu instid0(VALU_DEP_3) | instskip(SKIP_1) | instid1(VALU_DEP_3)
	v_or_b32_e32 v19, v25, v4
	s_wait_alu 0xf1ff
	v_cndmask_b32_e64 v0, 0, 1, s0
	v_mul_f64_e32 v[4:5], s[8:9], v[12:13]
	v_lshl_or_b32 v12, v21, 12, v23
	v_med3_i32 v13, v24, 0, 13
	v_cmp_gt_i32_e64 s0, 1, v21
	v_and_or_b32 v0, 0xffe, v10, v0
	v_cvt_f64_f32_e32 v[10:11], v11
	v_lshl_or_b32 v24, v14, 16, v18
	s_wait_alu 0xf1ff
	v_cndmask_b32_e64 v19, v12, v19, s0
	v_or_b32_e32 v25, 0x1000, v0
	v_add_co_u32 v6, s0, v6, s6
	s_wait_alu 0xf1ff
	v_add_co_ci_u32_e64 v7, s0, s7, v7, s0
	s_delay_alu instid0(VALU_DEP_3) | instskip(SKIP_2) | instid1(VALU_DEP_3)
	v_lshrrev_b32_e32 v20, v13, v25
	v_and_b32_e32 v14, 7, v19
	v_add_co_u32 v12, s0, v6, s6
	v_lshlrev_b32_e32 v18, v13, v20
	s_wait_alu 0xf1ff
	v_add_co_ci_u32_e64 v13, s0, s7, v7, s0
	v_cmp_lt_i32_e64 s0, 5, v14
	v_cmp_eq_u32_e64 s1, 3, v14
	v_cmp_ne_u32_e64 s2, v18, v25
	v_lshrrev_b32_e32 v14, 2, v19
	v_lshrrev_b32_e32 v25, 16, v17
	v_lshl_or_b32 v19, v16, 12, v0
	s_or_b32 s0, s1, s0
	v_cndmask_b32_e64 v18, 0, 1, s2
	s_wait_alu 0xfffe
	v_add_co_ci_u32_e64 v14, s0, 0, v14, s0
	v_cmp_ne_u32_e64 s0, 0, v23
	s_delay_alu instid0(VALU_DEP_3) | instskip(SKIP_2) | instid1(VALU_DEP_3)
	v_or_b32_e32 v18, v20, v18
	v_mul_f16_e32 v20, v64, v25
	s_wait_alu 0xf1ff
	v_cndmask_b32_e64 v23, 0, 1, s0
	v_cmp_gt_i32_e64 s0, 1, v16
	v_and_or_b32 v4, 0x1ff, v5, v4
	v_fmac_f16_e32 v20, v62, v17
	v_lshrrev_b32_e32 v27, 8, v5
	v_lshl_or_b32 v23, v23, 9, 0x7c00
	s_wait_alu 0xf1ff
	v_cndmask_b32_e64 v26, v19, v18, s0
	v_mul_f64_e32 v[10:11], s[8:9], v[10:11]
	v_cmp_gt_i32_e64 s0, 31, v21
	v_cvt_f32_f16_e32 v18, v20
	v_bfe_u32 v28, v5, 20, 11
	v_and_b32_e32 v20, 7, v26
	v_mul_f16_e32 v17, v64, v17
	s_wait_alu 0xf1ff
	v_cndmask_b32_e64 v14, 0x7c00, v14, s0
	v_cmp_ne_u32_e64 s0, 0, v4
	v_cvt_f64_f32_e32 v[18:19], v18
	v_cmp_eq_u32_e64 s1, 3, v20
	v_fma_f16 v17, v62, v25, -v17
	s_wait_alu 0xf1ff
	v_cndmask_b32_e64 v4, 0, 1, s0
	v_cmp_eq_u32_e64 s0, 0x40f, v21
	v_sub_nc_u32_e32 v21, 0x3f1, v28
	v_cvt_f32_f16_e32 v17, v17
	s_delay_alu instid0(VALU_DEP_4)
	v_and_or_b32 v4, 0xffe, v27, v4
	s_wait_alu 0xf1ff
	v_cndmask_b32_e64 v14, v14, v23, s0
	v_cmp_lt_i32_e64 s0, 5, v20
	v_lshrrev_b32_e32 v20, 2, v26
	v_med3_i32 v21, v21, 0, 13
	v_or_b32_e32 v23, 0x1000, v4
	v_and_or_b32 v26, 0x8000, v15, v14
	s_or_b32 s0, s1, s0
	v_cvt_f64_f32_e32 v[14:15], v17
	s_wait_alu 0xfffe
	v_add_co_ci_u32_e64 v20, s0, 0, v20, s0
	v_cmp_ne_u32_e64 s0, 0, v0
	v_lshrrev_b32_e32 v25, v21, v23
	s_wait_alu 0xf1ff
	s_delay_alu instid0(VALU_DEP_2) | instskip(SKIP_1) | instid1(VALU_DEP_3)
	v_cndmask_b32_e64 v0, 0, 1, s0
	v_cmp_gt_i32_e64 s0, 31, v16
	v_lshlrev_b32_e32 v17, v21, v25
	s_delay_alu instid0(VALU_DEP_3) | instskip(SKIP_1) | instid1(VALU_DEP_3)
	v_lshl_or_b32 v0, v0, 9, 0x7c00
	s_wait_alu 0xf1ff
	v_cndmask_b32_e64 v20, 0x7c00, v20, s0
	v_cmp_eq_u32_e64 s0, 0x40f, v16
	v_bfe_u32 v29, v11, 20, 11
	s_wait_alu 0xf1ff
	s_delay_alu instid0(VALU_DEP_2)
	v_cndmask_b32_e64 v20, v20, v0, s0
	v_and_or_b32 v0, 0x1ff, v11, v10
	v_cmp_ne_u32_e64 s0, v17, v23
	v_lshrrev_b32_e32 v10, 16, v1
	v_add_nc_u32_e32 v23, 0xfffffc10, v28
	v_lshrrev_b32_e32 v28, 8, v11
	ds_load_2addr_b32 v[16:17], v46 offset0:120 offset1:135
	s_wait_alu 0xf1ff
	v_cndmask_b32_e64 v21, 0, 1, s0
	v_cmp_ne_u32_e64 s0, 0, v0
	v_mul_f64_e32 v[0:1], s[8:9], v[18:19]
	v_and_or_b32 v10, 0x8000, v10, v20
	v_lshl_or_b32 v19, v23, 12, v4
	v_or_b32_e32 v18, v25, v21
	s_wait_alu 0xf1ff
	v_cndmask_b32_e64 v27, 0, 1, s0
	v_sub_nc_u32_e32 v21, 0x3f1, v29
	v_cmp_gt_i32_e64 s0, 1, v23
	s_clause 0x1
	global_store_b32 v[6:7], v22, off
	global_store_b32 v[12:13], v24, off
	v_and_b32_e32 v25, 0xffff, v26
	v_and_or_b32 v20, 0xffe, v28, v27
	v_med3_i32 v21, v21, 0, 13
	s_wait_alu 0xf1ff
	v_cndmask_b32_e64 v18, v19, v18, s0
	v_add_co_u32 v6, s0, v12, s6
	v_or_b32_e32 v19, 0x1000, v20
	s_wait_alu 0xf1ff
	v_add_co_ci_u32_e64 v7, s0, s7, v13, s0
	v_and_b32_e32 v22, 7, v18
	v_lshl_or_b32 v10, v10, 16, v25
	v_lshrrev_b32_e32 v24, v21, v19
	s_wait_dscnt 0x0
	v_lshrrev_b32_e32 v25, 16, v16
	v_mul_f64_e32 v[12:13], s[8:9], v[14:15]
	v_cmp_lt_i32_e64 s0, 5, v22
	v_cmp_eq_u32_e64 s1, 3, v22
	v_lshlrev_b32_e32 v21, v21, v24
	v_lshrrev_b32_e32 v15, 2, v18
	v_mul_f16_e32 v14, v61, v25
	v_lshrrev_b32_e32 v11, 16, v11
	s_or_b32 s0, s1, s0
	v_cmp_ne_u32_e64 s2, v21, v19
	s_wait_alu 0xfffe
	v_add_co_ci_u32_e64 v21, s0, 0, v15, s0
	v_add_nc_u32_e32 v19, 0xfffffc10, v29
	v_cmp_ne_u32_e64 s0, 0, v4
	s_wait_alu 0xf1ff
	v_cndmask_b32_e64 v18, 0, 1, s2
	v_fmac_f16_e32 v14, v60, v16
	v_mul_f16_e32 v16, v61, v16
	v_lshl_or_b32 v22, v19, 12, v20
	v_and_or_b32 v0, 0x1ff, v1, v0
	v_or_b32_e32 v18, v24, v18
	v_cndmask_b32_e64 v4, 0, 1, s0
	v_cmp_gt_i32_e64 s0, 1, v19
	v_cvt_f32_f16_e32 v14, v14
	v_bfe_u32 v24, v1, 20, 11
	v_fma_f16 v16, v60, v25, -v16
	v_lshl_or_b32 v4, v4, 9, 0x7c00
	s_wait_alu 0xf1ff
	v_cndmask_b32_e64 v18, v22, v18, s0
	v_cmp_ne_u32_e64 s0, 0, v0
	v_cvt_f64_f32_e32 v[14:15], v14
	v_lshrrev_b32_e32 v22, 8, v1
	v_cvt_f32_f16_e32 v16, v16
	v_and_b32_e32 v26, 7, v18
	s_wait_alu 0xf1ff
	v_cndmask_b32_e64 v0, 0, 1, s0
	v_cmp_gt_i32_e64 s0, 31, v23
	global_store_b32 v[6:7], v10, off
	v_lshrrev_b32_e32 v1, 16, v1
	v_cmp_eq_u32_e64 s1, 3, v26
	v_and_or_b32 v0, 0xffe, v22, v0
	s_wait_alu 0xf1ff
	v_cndmask_b32_e64 v21, 0x7c00, v21, s0
	v_sub_nc_u32_e32 v22, 0x3f1, v24
	v_cmp_eq_u32_e64 s0, 0x40f, v23
	v_lshrrev_b32_e32 v23, 16, v5
	v_lshrrev_b32_e32 v5, 2, v18
	v_and_or_b32 v12, 0x1ff, v13, v12
	v_med3_i32 v22, v22, 0, 13
	s_wait_alu 0xf1ff
	v_cndmask_b32_e64 v21, v21, v4, s0
	v_or_b32_e32 v4, 0x1000, v0
	v_cmp_lt_i32_e64 s0, 5, v26
	v_bfe_u32 v25, v13, 20, 11
	v_add_nc_u32_e32 v24, 0xfffffc10, v24
	v_and_or_b32 v10, 0x8000, v23, v21
	v_lshrrev_b32_e32 v18, v22, v4
	s_or_b32 s0, s1, s0
	v_add_nc_u32_e32 v21, 0xfffffc10, v25
	s_wait_alu 0xfffe
	v_add_co_ci_u32_e64 v26, s0, 0, v5, s0
	v_lshlrev_b32_e32 v5, v22, v18
	v_cmp_ne_u32_e64 s0, 0, v12
	v_lshrrev_b32_e32 v22, 8, v13
	s_wait_alu 0xf1ff
	s_delay_alu instid0(VALU_DEP_2) | instskip(SKIP_2) | instid1(VALU_DEP_3)
	v_cndmask_b32_e64 v12, 0, 1, s0
	v_cmp_ne_u32_e64 s0, v5, v4
	v_mul_f64_e32 v[4:5], s[8:9], v[14:15]
	v_and_or_b32 v12, 0xffe, v22, v12
	s_wait_alu 0xf1ff
	s_delay_alu instid0(VALU_DEP_3)
	v_cndmask_b32_e64 v27, 0, 1, s0
	v_cmp_ne_u32_e64 s0, 0, v20
	v_sub_nc_u32_e32 v22, 0x3f1, v25
	v_cvt_f64_f32_e32 v[14:15], v16
	v_lshl_or_b32 v20, v24, 12, v0
	v_or_b32_e32 v18, v18, v27
	s_wait_alu 0xf1ff
	v_cndmask_b32_e64 v16, 0, 1, s0
	v_cmp_gt_i32_e64 s0, 31, v19
	v_or_b32_e32 v27, 0x1000, v12
	v_med3_i32 v22, v22, 0, 13
	s_delay_alu instid0(VALU_DEP_4) | instskip(SKIP_4) | instid1(VALU_DEP_1)
	v_lshl_or_b32 v16, v16, 9, 0x7c00
	s_wait_alu 0xf1ff
	v_cndmask_b32_e64 v26, 0x7c00, v26, s0
	v_cmp_gt_i32_e64 s0, 1, v24
	s_wait_alu 0xf1ff
	v_cndmask_b32_e64 v18, v20, v18, s0
	v_lshrrev_b32_e32 v20, v22, v27
	v_cmp_eq_u32_e64 s0, 0x40f, v19
	s_delay_alu instid0(VALU_DEP_3) | instskip(NEXT) | instid1(VALU_DEP_3)
	v_and_b32_e32 v19, 7, v18
	v_lshlrev_b32_e32 v22, v22, v20
	s_wait_alu 0xf1ff
	s_delay_alu instid0(VALU_DEP_3) | instskip(NEXT) | instid1(VALU_DEP_3)
	v_cndmask_b32_e64 v16, v26, v16, s0
	v_cmp_lt_i32_e64 s0, 5, v19
	s_delay_alu instid0(VALU_DEP_3) | instskip(NEXT) | instid1(VALU_DEP_3)
	v_cmp_ne_u32_e64 s1, v22, v27
	v_and_or_b32 v16, 0x8000, v11, v16
	v_lshrrev_b32_e32 v22, 16, v17
	s_wait_alu 0xf1ff
	s_delay_alu instid0(VALU_DEP_3)
	v_cndmask_b32_e64 v11, 0, 1, s1
	v_cmp_eq_u32_e64 s1, 3, v19
	v_and_b32_e32 v19, 0xffff, v10
	v_lshrrev_b32_e32 v10, 2, v18
	v_lshl_or_b32 v18, v21, 12, v12
	v_or_b32_e32 v11, v20, v11
	s_or_b32 s0, s1, s0
	v_and_or_b32 v4, 0x1ff, v5, v4
	s_wait_alu 0xfffe
	v_add_co_ci_u32_e64 v20, s0, 0, v10, s0
	v_cmp_ne_u32_e64 s0, 0, v0
	v_lshrrev_b32_e32 v23, 8, v5
	v_bfe_u32 v25, v5, 20, 11
	v_lshrrev_b32_e32 v5, 16, v5
	s_wait_alu 0xf1ff
	v_cndmask_b32_e64 v0, 0, 1, s0
	v_cmp_gt_i32_e64 s0, 1, v21
	s_delay_alu instid0(VALU_DEP_2) | instskip(SKIP_1) | instid1(VALU_DEP_2)
	v_lshl_or_b32 v0, v0, 9, 0x7c00
	s_wait_alu 0xf1ff
	v_cndmask_b32_e64 v18, v18, v11, s0
	v_cmp_gt_i32_e64 s0, 31, v24
	v_mul_f64_e32 v[10:11], s[8:9], v[14:15]
	v_mul_f16_e32 v15, v59, v22
	s_wait_alu 0xf1ff
	s_delay_alu instid0(VALU_DEP_3) | instskip(SKIP_1) | instid1(VALU_DEP_3)
	v_cndmask_b32_e64 v14, 0x7c00, v20, s0
	v_cmp_ne_u32_e64 s0, 0, v4
	v_fmac_f16_e32 v15, v58, v17
	v_and_b32_e32 v20, 7, v18
	v_lshrrev_b32_e32 v18, 2, v18
	s_wait_alu 0xf1ff
	v_cndmask_b32_e64 v4, 0, 1, s0
	v_cmp_eq_u32_e64 s0, 0x40f, v24
	v_cmp_eq_u32_e64 s1, 3, v20
	s_delay_alu instid0(VALU_DEP_3) | instskip(SKIP_1) | instid1(VALU_DEP_3)
	v_and_or_b32 v4, 0xffe, v23, v4
	s_wait_alu 0xf1ff
	v_cndmask_b32_e64 v0, v14, v0, s0
	v_cvt_f32_f16_e32 v14, v15
	v_cmp_lt_i32_e64 s0, 5, v20
	v_sub_nc_u32_e32 v23, 0x3f1, v25
	v_or_b32_e32 v20, 0x1000, v4
	v_and_or_b32 v26, 0x8000, v1, v0
	v_cvt_f64_f32_e32 v[14:15], v14
	s_or_b32 s0, s1, s0
	v_med3_i32 v23, v23, 0, 13
	s_wait_alu 0xfffe
	v_add_co_ci_u32_e64 v18, s0, 0, v18, s0
	v_cmp_ne_u32_e64 s0, 0, v12
	v_mul_f16_e32 v0, v59, v17
	v_lshrrev_b32_e32 v24, v23, v20
	s_wait_alu 0xf1ff
	s_delay_alu instid0(VALU_DEP_3) | instskip(SKIP_1) | instid1(VALU_DEP_3)
	v_cndmask_b32_e64 v12, 0, 1, s0
	v_cmp_gt_i32_e64 s0, 31, v21
	v_lshlrev_b32_e32 v1, v23, v24
	v_fma_f16 v0, v58, v22, -v0
	s_delay_alu instid0(VALU_DEP_4)
	v_lshl_or_b32 v12, v12, 9, 0x7c00
	s_wait_alu 0xf1ff
	v_cndmask_b32_e64 v18, 0x7c00, v18, s0
	v_cmp_eq_u32_e64 s0, 0x40f, v21
	v_and_or_b32 v10, 0x1ff, v11, v10
	v_cvt_f32_f16_e32 v0, v0
	v_bfe_u32 v21, v11, 20, 11
	s_wait_alu 0xf1ff
	v_cndmask_b32_e64 v17, v18, v12, s0
	v_cmp_ne_u32_e64 s0, v1, v20
	v_cvt_f64_f32_e32 v[0:1], v0
	v_lshrrev_b32_e32 v18, 16, v13
	v_add_nc_u32_e32 v20, 0xfffffc10, v25
	v_lshrrev_b32_e32 v13, 8, v11
	s_wait_alu 0xf1ff
	v_cndmask_b32_e64 v12, 0, 1, s0
	v_cmp_ne_u32_e64 s0, 0, v10
	v_lshl_or_b32 v25, v16, 16, v19
	v_lshl_or_b32 v23, v20, 12, v4
	v_and_or_b32 v16, 0x8000, v18, v17
	v_or_b32_e32 v22, v24, v12
	s_wait_alu 0xf1ff
	v_cndmask_b32_e64 v10, 0, 1, s0
	v_sub_nc_u32_e32 v24, 0x3f1, v21
	v_cmp_gt_i32_e64 s0, 1, v20
	v_and_b32_e32 v17, 0xffff, v26
	v_mul_f64_e32 v[14:15], s[8:9], v[14:15]
	v_and_or_b32 v10, 0xffe, v13, v10
	ds_load_2addr_b32 v[12:13], v46 offset0:150 offset1:165
	s_wait_alu 0xf1ff
	v_cndmask_b32_e64 v22, v23, v22, s0
	v_med3_i32 v24, v24, 0, 13
	v_add_co_u32 v6, s0, v6, s6
	v_or_b32_e32 v23, 0x1000, v10
	s_delay_alu instid0(VALU_DEP_4)
	v_and_b32_e32 v18, 7, v22
	v_lshl_or_b32 v26, v16, 16, v17
	s_wait_alu 0xf1ff
	v_add_co_ci_u32_e64 v7, s0, s7, v7, s0
	v_lshrrev_b32_e32 v19, v24, v23
	v_cmp_lt_i32_e64 s0, 5, v18
	v_cmp_eq_u32_e64 s1, 3, v18
	v_lshrrev_b32_e32 v17, 2, v22
	v_add_nc_u32_e32 v21, 0xfffffc10, v21
	v_lshlrev_b32_e32 v16, v24, v19
	s_delay_alu instid0(VALU_DEP_4)
	s_or_b32 s0, s1, s0
	s_wait_alu 0xfffe
	v_add_co_ci_u32_e64 v17, s0, 0, v17, s0
	s_wait_dscnt 0x0
	v_lshrrev_b32_e32 v24, 16, v12
	v_cmp_ne_u32_e64 s2, v16, v23
	v_cmp_ne_u32_e64 s0, 0, v4
	v_mul_f64_e32 v[0:1], s[8:9], v[0:1]
	s_delay_alu instid0(VALU_DEP_4)
	v_mul_f16_e32 v18, v57, v24
	s_wait_alu 0xf1ff
	v_cndmask_b32_e64 v16, 0, 1, s2
	v_cndmask_b32_e64 v4, 0, 1, s0
	v_cmp_gt_i32_e64 s0, 1, v21
	v_fmac_f16_e32 v18, v56, v12
	s_delay_alu instid0(VALU_DEP_4) | instskip(SKIP_4) | instid1(VALU_DEP_3)
	v_or_b32_e32 v16, v19, v16
	v_lshl_or_b32 v19, v21, 12, v10
	v_lshl_or_b32 v4, v4, 9, 0x7c00
	v_and_or_b32 v14, 0x1ff, v15, v14
	s_wait_alu 0xf1ff
	v_cndmask_b32_e64 v22, v19, v16, s0
	v_cvt_f32_f16_e32 v16, v18
	v_cmp_gt_i32_e64 s0, 31, v20
	v_cmp_ne_u32_e64 s1, 0, v14
	s_delay_alu instid0(VALU_DEP_4)
	v_and_b32_e32 v27, 7, v22
	v_lshrrev_b32_e32 v22, 2, v22
	s_wait_alu 0xf1ff
	v_cndmask_b32_e64 v23, 0x7c00, v17, s0
	v_cvt_f64_f32_e32 v[16:17], v16
	v_add_co_u32 v18, s0, v6, s6
	s_wait_alu 0xf1ff
	v_add_co_ci_u32_e64 v19, s0, s7, v7, s0
	v_cmp_eq_u32_e64 s0, 0x40f, v20
	v_cndmask_b32_e64 v14, 0, 1, s1
	v_cmp_eq_u32_e64 s1, 3, v27
	v_lshrrev_b32_e32 v20, 8, v15
	global_store_b32 v[6:7], v25, off
	global_store_b32 v[18:19], v26, off
	s_wait_alu 0xf1ff
	v_cndmask_b32_e64 v4, v23, v4, s0
	v_cmp_lt_i32_e64 s0, 5, v27
	v_bfe_u32 v23, v15, 20, 11
	v_and_or_b32 v14, 0xffe, v20, v14
	v_lshrrev_b32_e32 v15, 16, v15
	v_and_or_b32 v28, 0x8000, v5, v4
	s_or_b32 s0, s1, s0
	v_sub_nc_u32_e32 v20, 0x3f1, v23
	s_wait_alu 0xfffe
	v_add_co_ci_u32_e64 v22, s0, 0, v22, s0
	v_cmp_ne_u32_e64 s0, 0, v10
	v_or_b32_e32 v27, 0x1000, v14
	v_med3_i32 v20, v20, 0, 13
	v_and_or_b32 v0, 0x1ff, v1, v0
	v_add_nc_u32_e32 v23, 0xfffffc10, v23
	s_wait_alu 0xf1ff
	v_cndmask_b32_e64 v10, 0, 1, s0
	v_cmp_gt_i32_e64 s0, 31, v21
	v_lshrrev_b32_e32 v29, v20, v27
	v_cmp_eq_u32_e64 s2, 0x40f, v23
	s_delay_alu instid0(VALU_DEP_4) | instskip(SKIP_4) | instid1(VALU_DEP_1)
	v_lshl_or_b32 v10, v10, 9, 0x7c00
	s_wait_alu 0xf1ff
	v_cndmask_b32_e64 v22, 0x7c00, v22, s0
	v_cmp_eq_u32_e64 s0, 0x40f, v21
	s_wait_alu 0xf1ff
	v_cndmask_b32_e64 v21, v22, v10, s0
	v_lshlrev_b32_e32 v10, v20, v29
	v_cmp_ne_u32_e64 s0, 0, v0
	v_lshrrev_b32_e32 v22, 16, v11
	v_mul_f16_e32 v11, v57, v12
	v_lshrrev_b32_e32 v12, 8, v1
	v_bfe_u32 v20, v1, 20, 11
	s_wait_alu 0xf1ff
	v_cndmask_b32_e64 v0, 0, 1, s0
	v_mul_f64_e32 v[4:5], s[8:9], v[16:17]
	v_cmp_ne_u32_e64 s0, v10, v27
	v_fma_f16 v11, v56, v24, -v11
	v_lshl_or_b32 v17, v23, 12, v14
	v_and_or_b32 v0, 0xffe, v12, v0
	v_sub_nc_u32_e32 v12, 0x3f1, v20
	s_wait_alu 0xf1ff
	v_cndmask_b32_e64 v10, 0, 1, s0
	v_cvt_f32_f16_e32 v11, v11
	v_cmp_gt_i32_e64 s0, 1, v23
	v_or_b32_e32 v24, 0x1000, v0
	v_med3_i32 v12, v12, 0, 13
	v_or_b32_e32 v16, v29, v10
	v_cvt_f64_f32_e32 v[10:11], v11
	v_and_or_b32 v21, 0x8000, v22, v21
	v_and_b32_e32 v22, 0xffff, v28
	v_lshrrev_b32_e32 v1, 16, v1
	s_wait_alu 0xf1ff
	v_cndmask_b32_e64 v16, v17, v16, s0
	v_lshrrev_b32_e32 v17, v12, v24
	v_add_co_u32 v6, s0, v18, s6
	v_lshl_or_b32 v21, v21, 16, v22
	s_delay_alu instid0(VALU_DEP_4) | instskip(NEXT) | instid1(VALU_DEP_4)
	v_and_b32_e32 v22, 7, v16
	v_lshlrev_b32_e32 v12, v12, v17
	s_wait_alu 0xf1ff
	v_add_co_ci_u32_e64 v7, s0, s7, v19, s0
	v_lshrrev_b32_e32 v18, 16, v13
	v_cmp_lt_i32_e64 s0, 5, v22
	v_cmp_ne_u32_e64 s1, v12, v24
	v_lshrrev_b32_e32 v16, 2, v16
	v_add_nc_u32_e32 v19, 0xfffffc10, v20
	v_mul_f16_e32 v20, v55, v18
	s_wait_alu 0xf1ff
	v_cndmask_b32_e64 v12, 0, 1, s1
	v_cmp_eq_u32_e64 s1, 3, v22
	s_delay_alu instid0(VALU_DEP_3) | instskip(NEXT) | instid1(VALU_DEP_3)
	v_fmac_f16_e32 v20, v53, v13
	v_or_b32_e32 v12, v17, v12
	s_delay_alu instid0(VALU_DEP_3)
	s_or_b32 s0, s1, s0
	v_lshl_or_b32 v17, v19, 12, v0
	s_wait_alu 0xfffe
	v_add_co_ci_u32_e64 v22, s0, 0, v16, s0
	v_and_or_b32 v4, 0x1ff, v5, v4
	v_cmp_gt_i32_e64 s0, 1, v19
	v_cvt_f32_f16_e32 v16, v20
	v_lshrrev_b32_e32 v20, 8, v5
	v_bfe_u32 v24, v5, 20, 11
	s_wait_alu 0xf1ff
	v_cndmask_b32_e64 v12, v17, v12, s0
	v_cmp_ne_u32_e64 s0, 0, v4
	v_cvt_f64_f32_e32 v[16:17], v16
	v_mul_f64_e32 v[10:11], s[8:9], v[10:11]
	s_delay_alu instid0(VALU_DEP_4)
	v_and_b32_e32 v25, 7, v12
	s_wait_alu 0xf1ff
	v_cndmask_b32_e64 v4, 0, 1, s0
	v_cmp_ne_u32_e64 s0, 0, v14
	v_lshrrev_b32_e32 v12, 2, v12
	v_cmp_eq_u32_e64 s1, 3, v25
	s_delay_alu instid0(VALU_DEP_4)
	v_and_or_b32 v4, 0xffe, v20, v4
	s_wait_alu 0xf1ff
	v_cndmask_b32_e64 v14, 0, 1, s0
	v_cmp_gt_i32_e64 s0, 31, v23
	v_sub_nc_u32_e32 v20, 0x3f1, v24
	v_or_b32_e32 v26, 0x1000, v4
	s_delay_alu instid0(VALU_DEP_4) | instskip(SKIP_4) | instid1(VALU_DEP_3)
	v_lshl_or_b32 v14, v14, 9, 0x7c00
	s_wait_alu 0xf1ff
	v_cndmask_b32_e64 v22, 0x7c00, v22, s0
	v_cmp_lt_i32_e64 s0, 5, v25
	v_med3_i32 v20, v20, 0, 13
	v_cndmask_b32_e64 v14, v22, v14, s2
	s_delay_alu instid0(VALU_DEP_3) | instskip(NEXT) | instid1(VALU_DEP_2)
	s_or_b32 s0, s1, s0
	v_lshrrev_b32_e32 v22, v20, v26
	s_wait_alu 0xfffe
	v_add_co_ci_u32_e64 v12, s0, 0, v12, s0
	v_cmp_ne_u32_e64 s0, 0, v0
	v_and_or_b32 v14, 0x8000, v15, v14
	v_lshlrev_b32_e32 v20, v20, v22
	s_wait_alu 0xf1ff
	s_delay_alu instid0(VALU_DEP_3) | instskip(SKIP_2) | instid1(VALU_DEP_3)
	v_cndmask_b32_e64 v0, 0, 1, s0
	v_cmp_gt_i32_e64 s0, 31, v19
	v_and_b32_e32 v14, 0xffff, v14
	v_lshl_or_b32 v0, v0, 9, 0x7c00
	s_wait_alu 0xf1ff
	s_delay_alu instid0(VALU_DEP_3)
	v_cndmask_b32_e64 v12, 0x7c00, v12, s0
	v_cmp_ne_u32_e64 s0, v20, v26
	ds_load_b32 v20, v46 offset:720
	v_and_or_b32 v10, 0x1ff, v11, v10
	s_wait_alu 0xf1ff
	v_cndmask_b32_e64 v15, 0, 1, s0
	v_cmp_eq_u32_e64 s0, 0x40f, v19
	v_add_nc_u32_e32 v19, 0xfffffc10, v24
	s_delay_alu instid0(VALU_DEP_3)
	v_or_b32_e32 v15, v22, v15
	v_mul_f16_e32 v22, v55, v13
	s_wait_alu 0xf1ff
	v_cndmask_b32_e64 v0, v12, v0, s0
	v_mul_f64_e32 v[12:13], s[8:9], v[16:17]
	v_lshl_or_b32 v16, v19, 12, v4
	v_cmp_gt_i32_e64 s0, 1, v19
	v_fma_f16 v17, v53, v18, -v22
	v_bfe_u32 v18, v11, 20, 11
	v_and_or_b32 v22, 0x8000, v1, v0
	s_wait_alu 0xf1ff
	v_cndmask_b32_e64 v15, v16, v15, s0
	v_cmp_ne_u32_e64 s0, 0, v10
	v_cvt_f32_f16_e32 v16, v17
	v_lshrrev_b32_e32 v17, 8, v11
	v_lshl_or_b32 v22, v22, 16, v14
	v_and_b32_e32 v23, 7, v15
	s_wait_alu 0xf1ff
	v_cndmask_b32_e64 v10, 0, 1, s0
	v_cvt_f64_f32_e32 v[0:1], v16
	v_sub_nc_u32_e32 v16, 0x3f1, v18
	v_lshrrev_b32_e32 v14, 2, v15
	v_cmp_lt_i32_e64 s0, 5, v23
	v_and_or_b32 v10, 0xffe, v17, v10
	s_wait_dscnt 0x0
	v_lshrrev_b32_e32 v17, 16, v20
	v_cmp_eq_u32_e64 s1, 3, v23
	v_med3_i32 v16, v16, 0, 13
	v_add_nc_u32_e32 v18, 0xfffffc10, v18
	v_or_b32_e32 v24, 0x1000, v10
	v_mul_f16_e32 v25, v54, v17
	s_or_b32 s0, s1, s0
	s_wait_alu 0xfffe
	v_add_co_ci_u32_e64 v14, s0, 0, v14, s0
	v_lshrrev_b32_e32 v23, v16, v24
	v_fmac_f16_e32 v25, v52, v20
	v_cmp_ne_u32_e64 s0, 0, v4
	v_mul_f16_e32 v20, v54, v20
	s_delay_alu instid0(VALU_DEP_4) | instskip(NEXT) | instid1(VALU_DEP_4)
	v_lshlrev_b32_e32 v16, v16, v23
	v_cvt_f32_f16_e32 v15, v25
	s_wait_alu 0xf1ff
	v_cndmask_b32_e64 v4, 0, 1, s0
	v_cmp_gt_i32_e64 s0, 31, v19
	v_and_or_b32 v12, 0x1ff, v13, v12
	v_fma_f16 v17, v52, v17, -v20
	v_lshl_or_b32 v20, v18, 12, v10
	v_lshl_or_b32 v4, v4, 9, 0x7c00
	s_wait_alu 0xf1ff
	v_cndmask_b32_e64 v25, 0x7c00, v14, s0
	v_cvt_f64_f32_e32 v[14:15], v15
	v_cmp_ne_u32_e64 s0, v16, v24
	v_lshrrev_b32_e32 v24, 8, v13
	v_cvt_f32_f16_e32 v17, v17
	s_wait_alu 0xf1ff
	s_delay_alu instid0(VALU_DEP_3) | instskip(SKIP_2) | instid1(VALU_DEP_3)
	v_cndmask_b32_e64 v16, 0, 1, s0
	v_cmp_ne_u32_e64 s0, 0, v12
	v_mul_f64_e32 v[0:1], s[8:9], v[0:1]
	v_or_b32_e32 v16, v23, v16
	s_wait_alu 0xf1ff
	s_delay_alu instid0(VALU_DEP_3) | instskip(SKIP_3) | instid1(VALU_DEP_4)
	v_cndmask_b32_e64 v12, 0, 1, s0
	v_bfe_u32 v23, v13, 20, 11
	v_cmp_gt_i32_e64 s0, 1, v18
	v_lshrrev_b32_e32 v13, 16, v13
	v_and_or_b32 v12, 0xffe, v24, v12
	s_delay_alu instid0(VALU_DEP_4)
	v_sub_nc_u32_e32 v24, 0x3f1, v23
	s_wait_alu 0xf1ff
	v_cndmask_b32_e64 v20, v20, v16, s0
	v_cmp_eq_u32_e64 s0, 0x40f, v19
	v_cvt_f64_f32_e32 v[16:17], v17
	v_or_b32_e32 v26, 0x1000, v12
	v_med3_i32 v24, v24, 0, 13
	v_and_b32_e32 v27, 7, v20
	s_wait_alu 0xf1ff
	v_cndmask_b32_e64 v19, v25, v4, s0
	v_add_co_u32 v4, s0, v6, s6
	v_lshrrev_b32_e32 v28, v24, v26
	v_lshrrev_b32_e32 v25, 16, v5
	s_wait_alu 0xf1ff
	v_add_co_ci_u32_e64 v5, s0, s7, v7, s0
	v_cmp_lt_i32_e64 s0, 5, v27
	v_cmp_eq_u32_e64 s1, 3, v27
	v_lshrrev_b32_e32 v20, 2, v20
	v_lshlrev_b32_e32 v24, v24, v28
	v_add_nc_u32_e32 v23, 0xfffffc10, v23
	v_and_or_b32 v19, 0x8000, v25, v19
	s_or_b32 s0, s1, s0
	v_mul_f64_e32 v[14:15], s[8:9], v[14:15]
	s_wait_alu 0xfffe
	v_add_co_ci_u32_e64 v20, s0, 0, v20, s0
	v_cmp_ne_u32_e64 s2, v24, v26
	v_cmp_ne_u32_e64 s0, 0, v10
	v_lshl_or_b32 v25, v23, 12, v12
	s_wait_alu 0xf1ff
	s_delay_alu instid0(VALU_DEP_3) | instskip(NEXT) | instid1(VALU_DEP_3)
	v_cndmask_b32_e64 v24, 0, 1, s2
	v_cndmask_b32_e64 v10, 0, 1, s0
	v_cmp_gt_i32_e64 s0, 31, v18
	v_and_or_b32 v0, 0x1ff, v1, v0
	v_lshrrev_b32_e32 v26, 8, v1
	v_or_b32_e32 v24, v28, v24
	v_lshl_or_b32 v10, v10, 9, 0x7c00
	s_wait_alu 0xf1ff
	v_cndmask_b32_e64 v20, 0x7c00, v20, s0
	v_cmp_gt_i32_e64 s0, 1, v23
	s_wait_alu 0xf1ff
	s_delay_alu instid0(VALU_DEP_1) | instskip(SKIP_1) | instid1(VALU_DEP_2)
	v_cndmask_b32_e64 v24, v25, v24, s0
	v_cmp_eq_u32_e64 s0, 0x40f, v18
	v_and_b32_e32 v25, 7, v24
	s_wait_alu 0xf1ff
	s_delay_alu instid0(VALU_DEP_2)
	v_cndmask_b32_e64 v18, v20, v10, s0
	v_lshrrev_b32_e32 v20, 16, v11
	v_cmp_ne_u32_e64 s0, 0, v0
	v_mul_f64_e32 v[10:11], s[8:9], v[16:17]
	v_bfe_u32 v16, v1, 20, 11
	v_cmp_eq_u32_e64 s1, 3, v25
	v_and_or_b32 v17, 0x8000, v20, v18
	v_and_b32_e32 v18, 0xffff, v19
	s_wait_alu 0xf1ff
	v_cndmask_b32_e64 v0, 0, 1, s0
	v_cmp_lt_i32_e64 s0, 5, v25
	v_sub_nc_u32_e32 v19, 0x3f1, v16
	v_and_or_b32 v14, 0x1ff, v15, v14
	v_lshl_or_b32 v17, v17, 16, v18
	v_lshrrev_b32_e32 v18, 2, v24
	v_and_or_b32 v0, 0xffe, v26, v0
	s_or_b32 s0, s1, s0
	v_med3_i32 v19, v19, 0, 13
	v_lshrrev_b32_e32 v25, 8, v15
	s_wait_alu 0xfffe
	v_add_co_ci_u32_e64 v18, s0, 0, v18, s0
	v_or_b32_e32 v20, 0x1000, v0
	v_cmp_ne_u32_e64 s0, 0, v12
	v_bfe_u32 v26, v15, 20, 11
	v_add_nc_u32_e32 v16, 0xfffffc10, v16
	v_lshrrev_b32_e32 v1, 16, v1
	v_lshrrev_b32_e32 v24, v19, v20
	s_wait_alu 0xf1ff
	v_cndmask_b32_e64 v12, 0, 1, s0
	v_cmp_gt_i32_e64 s0, 31, v23
	v_lshrrev_b32_e32 v15, 16, v15
	v_lshlrev_b32_e32 v19, v19, v24
	s_delay_alu instid0(VALU_DEP_4) | instskip(SKIP_4) | instid1(VALU_DEP_1)
	v_lshl_or_b32 v12, v12, 9, 0x7c00
	s_wait_alu 0xf1ff
	v_cndmask_b32_e64 v18, 0x7c00, v18, s0
	v_cmp_ne_u32_e64 s0, 0, v14
	s_wait_alu 0xf1ff
	v_cndmask_b32_e64 v14, 0, 1, s0
	v_cmp_ne_u32_e64 s0, v19, v20
	v_sub_nc_u32_e32 v20, 0x3f1, v26
	v_and_or_b32 v10, 0x1ff, v11, v10
	s_delay_alu instid0(VALU_DEP_4)
	v_and_or_b32 v14, 0xffe, v25, v14
	s_wait_alu 0xf1ff
	v_cndmask_b32_e64 v19, 0, 1, s0
	v_cmp_eq_u32_e64 s0, 0x40f, v23
	v_med3_i32 v20, v20, 0, 13
	v_bfe_u32 v25, v11, 20, 11
	v_or_b32_e32 v23, 0x1000, v14
	s_wait_alu 0xf1ff
	v_cndmask_b32_e64 v12, v18, v12, s0
	v_or_b32_e32 v18, v24, v19
	v_lshl_or_b32 v19, v16, 12, v0
	v_cmp_gt_i32_e64 s0, 1, v16
	v_lshrrev_b32_e32 v24, 8, v11
	v_and_or_b32 v12, 0x8000, v13, v12
	v_sub_nc_u32_e32 v13, 0x3f1, v25
	s_wait_alu 0xf1ff
	v_cndmask_b32_e64 v18, v19, v18, s0
	v_lshrrev_b32_e32 v19, v20, v23
	v_cmp_ne_u32_e64 s0, 0, v10
	v_med3_i32 v13, v13, 0, 13
	s_delay_alu instid0(VALU_DEP_4) | instskip(NEXT) | instid1(VALU_DEP_4)
	v_and_b32_e32 v27, 7, v18
	v_lshlrev_b32_e32 v20, v20, v19
	s_wait_alu 0xf1ff
	v_cndmask_b32_e64 v10, 0, 1, s0
	v_lshrrev_b32_e32 v18, 2, v18
	v_cmp_lt_i32_e64 s0, 5, v27
	v_cmp_ne_u32_e64 s1, v20, v23
	s_delay_alu instid0(VALU_DEP_4) | instskip(SKIP_2) | instid1(VALU_DEP_3)
	v_and_or_b32 v10, 0xffe, v24, v10
	v_add_nc_u32_e32 v24, 0xfffffc10, v26
	s_wait_alu 0xf1ff
	v_cndmask_b32_e64 v20, 0, 1, s1
	v_cmp_eq_u32_e64 s1, 3, v27
	v_or_b32_e32 v23, 0x1000, v10
	v_lshl_or_b32 v26, v24, 12, v14
	s_delay_alu instid0(VALU_DEP_4) | instskip(NEXT) | instid1(VALU_DEP_4)
	v_or_b32_e32 v19, v19, v20
	s_or_b32 s0, s1, s0
	s_delay_alu instid0(VALU_DEP_3) | instskip(SKIP_3) | instid1(VALU_DEP_3)
	v_lshrrev_b32_e32 v20, v13, v23
	s_wait_alu 0xfffe
	v_add_co_ci_u32_e64 v18, s0, 0, v18, s0
	v_cmp_gt_i32_e64 s0, 1, v24
	v_lshlrev_b32_e32 v13, v13, v20
	s_wait_alu 0xf1ff
	s_delay_alu instid0(VALU_DEP_2) | instskip(SKIP_2) | instid1(VALU_DEP_1)
	v_cndmask_b32_e64 v19, v26, v19, s0
	v_cmp_ne_u32_e64 s0, 0, v0
	s_wait_alu 0xf1ff
	v_cndmask_b32_e64 v0, 0, 1, s0
	v_cmp_ne_u32_e64 s0, v13, v23
	v_add_nc_u32_e32 v23, 0xfffffc10, v25
	v_and_b32_e32 v25, 7, v19
	s_delay_alu instid0(VALU_DEP_4)
	v_lshl_or_b32 v0, v0, 9, 0x7c00
	s_wait_alu 0xf1ff
	v_cndmask_b32_e64 v13, 0, 1, s0
	v_cmp_gt_i32_e64 s0, 31, v16
	v_cmp_gt_i32_e64 s2, 1, v23
	v_cmp_eq_u32_e64 s1, 3, v25
	s_delay_alu instid0(VALU_DEP_4) | instskip(SKIP_4) | instid1(VALU_DEP_3)
	v_or_b32_e32 v13, v20, v13
	v_lshl_or_b32 v20, v23, 12, v10
	s_wait_alu 0xf1ff
	v_cndmask_b32_e64 v18, 0x7c00, v18, s0
	v_cmp_lt_i32_e64 s0, 5, v25
	v_cndmask_b32_e64 v13, v20, v13, s2
	v_cmp_eq_u32_e64 s2, 0x40f, v16
	v_lshrrev_b32_e32 v16, 2, v19
	s_delay_alu instid0(VALU_DEP_4) | instskip(NEXT) | instid1(VALU_DEP_2)
	s_or_b32 s0, s1, s0
	v_cndmask_b32_e64 v0, v18, v0, s2
	s_wait_alu 0xfffe
	s_delay_alu instid0(VALU_DEP_2)
	v_add_co_ci_u32_e64 v16, s0, 0, v16, s0
	v_and_b32_e32 v18, 7, v13
	v_cmp_ne_u32_e64 s0, 0, v14
	v_lshrrev_b32_e32 v13, 2, v13
	v_cmp_gt_i32_e64 s2, 31, v24
	v_and_or_b32 v0, 0x8000, v1, v0
	v_cmp_eq_u32_e64 s1, 3, v18
	s_wait_alu 0xf1ff
	v_cndmask_b32_e64 v14, 0, 1, s0
	v_cmp_lt_i32_e64 s0, 5, v18
	v_cndmask_b32_e64 v16, 0x7c00, v16, s2
	v_and_b32_e32 v1, 0xffff, v12
	s_delay_alu instid0(VALU_DEP_4) | instskip(NEXT) | instid1(VALU_DEP_4)
	v_lshl_or_b32 v14, v14, 9, 0x7c00
	s_or_b32 s0, s1, s0
	s_wait_alu 0xfffe
	v_add_co_ci_u32_e64 v13, s0, 0, v13, s0
	v_cmp_ne_u32_e64 s0, 0, v10
	s_wait_alu 0xf1ff
	s_delay_alu instid0(VALU_DEP_1) | instskip(SKIP_1) | instid1(VALU_DEP_2)
	v_cndmask_b32_e64 v10, 0, 1, s0
	v_cmp_eq_u32_e64 s0, 0x40f, v24
	v_lshl_or_b32 v10, v10, 9, 0x7c00
	s_wait_alu 0xf1ff
	s_delay_alu instid0(VALU_DEP_2) | instskip(SKIP_1) | instid1(VALU_DEP_2)
	v_cndmask_b32_e64 v14, v16, v14, s0
	v_cmp_gt_i32_e64 s0, 31, v23
	v_and_or_b32 v12, 0x8000, v15, v14
	s_wait_alu 0xf1ff
	s_delay_alu instid0(VALU_DEP_2)
	v_cndmask_b32_e64 v13, 0x7c00, v13, s0
	v_cmp_eq_u32_e64 s0, 0x40f, v23
	v_lshrrev_b32_e32 v14, 16, v11
	v_lshl_or_b32 v15, v0, 16, v1
	v_and_b32_e32 v1, 0xffff, v12
	s_wait_alu 0xf1ff
	v_cndmask_b32_e64 v13, v13, v10, s0
	v_add_co_u32 v10, s0, v4, s6
	s_wait_alu 0xf1ff
	v_add_co_ci_u32_e64 v11, s0, s7, v5, s0
	s_delay_alu instid0(VALU_DEP_3) | instskip(NEXT) | instid1(VALU_DEP_3)
	v_and_or_b32 v0, 0x8000, v14, v13
	v_add_co_u32 v12, s0, v10, s6
	s_wait_alu 0xf1ff
	s_delay_alu instid0(VALU_DEP_3) | instskip(NEXT) | instid1(VALU_DEP_3)
	v_add_co_ci_u32_e64 v13, s0, s7, v11, s0
	v_lshl_or_b32 v14, v0, 16, v1
	s_delay_alu instid0(VALU_DEP_3) | instskip(SKIP_1) | instid1(VALU_DEP_3)
	v_add_co_u32 v0, s0, v12, s6
	s_wait_alu 0xf1ff
	v_add_co_ci_u32_e64 v1, s0, s7, v13, s0
	global_store_b32 v[6:7], v21, off
	global_store_b32 v[4:5], v22, off
	;; [unrolled: 1-line block ×5, first 2 shown]
	s_and_b32 exec_lo, exec_lo, vcc_lo
	s_cbranch_execz .LBB0_15
; %bb.14:
	global_load_b32 v4, v[8:9], off offset:52
	ds_load_b32 v5, v80 offset:52
	v_mad_co_u64_u32 v[0:1], null, 0xfffffd64, s4, v[0:1]
	s_mul_u64 s[6:7], s[4:5], 0x78
	s_wait_dscnt 0x0
	v_lshrrev_b32_e32 v6, 16, v5
	s_wait_loadcnt 0x0
	v_lshrrev_b32_e32 v7, 16, v4
	s_delay_alu instid0(VALU_DEP_1) | instskip(SKIP_1) | instid1(VALU_DEP_2)
	v_mul_f16_e32 v10, v6, v7
	v_mul_f16_e32 v7, v5, v7
	v_fmac_f16_e32 v10, v5, v4
	s_delay_alu instid0(VALU_DEP_2) | instskip(NEXT) | instid1(VALU_DEP_2)
	v_fma_f16 v4, v4, v6, -v7
	v_cvt_f32_f16_e32 v5, v10
	s_delay_alu instid0(VALU_DEP_2) | instskip(NEXT) | instid1(VALU_DEP_2)
	v_cvt_f32_f16_e32 v6, v4
	v_cvt_f64_f32_e32 v[4:5], v5
	s_delay_alu instid0(VALU_DEP_2) | instskip(NEXT) | instid1(VALU_DEP_2)
	v_cvt_f64_f32_e32 v[6:7], v6
	v_mul_f64_e32 v[4:5], s[8:9], v[4:5]
	s_delay_alu instid0(VALU_DEP_2) | instskip(NEXT) | instid1(VALU_DEP_2)
	v_mul_f64_e32 v[6:7], s[8:9], v[6:7]
	v_and_or_b32 v4, 0x1ff, v5, v4
	s_delay_alu instid0(VALU_DEP_2)
	v_and_or_b32 v6, 0x1ff, v7, v6
	v_lshrrev_b32_e32 v10, 8, v5
	v_bfe_u32 v11, v5, 20, 11
	v_lshrrev_b32_e32 v12, 8, v7
	v_cmp_ne_u32_e32 vcc_lo, 0, v4
	v_bfe_u32 v13, v7, 20, 11
	v_lshrrev_b32_e32 v5, 16, v5
	v_sub_nc_u32_e32 v14, 0x3f1, v11
	v_lshrrev_b32_e32 v7, 16, v7
	s_wait_alu 0xfffd
	v_cndmask_b32_e64 v4, 0, 1, vcc_lo
	v_cmp_ne_u32_e32 vcc_lo, 0, v6
	s_delay_alu instid0(VALU_DEP_2) | instskip(SKIP_3) | instid1(VALU_DEP_2)
	v_and_or_b32 v4, 0xffe, v10, v4
	s_wait_alu 0xfffd
	v_cndmask_b32_e64 v6, 0, 1, vcc_lo
	v_sub_nc_u32_e32 v10, 0x3f1, v13
	v_and_or_b32 v6, 0xffe, v12, v6
	v_med3_i32 v12, v14, 0, 13
	v_or_b32_e32 v14, 0x1000, v4
	s_delay_alu instid0(VALU_DEP_4) | instskip(NEXT) | instid1(VALU_DEP_4)
	v_med3_i32 v10, v10, 0, 13
	v_or_b32_e32 v15, 0x1000, v6
	s_delay_alu instid0(VALU_DEP_3) | instskip(NEXT) | instid1(VALU_DEP_2)
	v_lshrrev_b32_e32 v16, v12, v14
	v_lshrrev_b32_e32 v17, v10, v15
	s_delay_alu instid0(VALU_DEP_2) | instskip(NEXT) | instid1(VALU_DEP_2)
	v_lshlrev_b32_e32 v12, v12, v16
	v_lshlrev_b32_e32 v10, v10, v17
	s_delay_alu instid0(VALU_DEP_2) | instskip(SKIP_2) | instid1(VALU_DEP_3)
	v_cmp_ne_u32_e32 vcc_lo, v12, v14
	s_wait_alu 0xfffd
	v_cndmask_b32_e64 v12, 0, 1, vcc_lo
	v_cmp_ne_u32_e32 vcc_lo, v10, v15
	s_delay_alu instid0(VALU_DEP_2) | instskip(SKIP_3) | instid1(VALU_DEP_2)
	v_or_b32_e32 v12, v16, v12
	v_add_nc_u32_e32 v11, 0xfffffc10, v11
	s_wait_alu 0xfffd
	v_cndmask_b32_e64 v10, 0, 1, vcc_lo
	v_lshl_or_b32 v14, v11, 12, v4
	s_delay_alu instid0(VALU_DEP_2) | instskip(SKIP_2) | instid1(VALU_DEP_2)
	v_or_b32_e32 v10, v17, v10
	v_add_nc_u32_e32 v13, 0xfffffc10, v13
	v_cmp_gt_i32_e32 vcc_lo, 1, v11
	v_lshl_or_b32 v15, v13, 12, v6
	s_wait_alu 0xfffd
	v_cndmask_b32_e32 v12, v14, v12, vcc_lo
	v_cmp_gt_i32_e32 vcc_lo, 1, v13
	s_delay_alu instid0(VALU_DEP_2)
	v_and_b32_e32 v14, 7, v12
	s_wait_alu 0xfffd
	v_cndmask_b32_e32 v10, v15, v10, vcc_lo
	v_cmp_ne_u32_e32 vcc_lo, 0, v4
	v_lshrrev_b32_e32 v12, 2, v12
	v_cmp_eq_u32_e64 s0, 3, v14
	s_wait_alu 0xfffd
	v_cndmask_b32_e64 v4, 0, 1, vcc_lo
	v_cmp_ne_u32_e32 vcc_lo, 0, v6
	s_delay_alu instid0(VALU_DEP_2) | instskip(SKIP_3) | instid1(VALU_DEP_2)
	v_lshl_or_b32 v4, v4, 9, 0x7c00
	s_wait_alu 0xfffd
	v_cndmask_b32_e64 v6, 0, 1, vcc_lo
	v_cmp_lt_i32_e32 vcc_lo, 5, v14
	v_lshl_or_b32 v6, v6, 9, 0x7c00
	s_or_b32 vcc_lo, s0, vcc_lo
	s_mul_i32 s0, s5, 0xfffffd64
	s_wait_alu 0xfffe
	v_add_co_ci_u32_e32 v12, vcc_lo, 0, v12, vcc_lo
	v_and_b32_e32 v15, 7, v10
	v_lshrrev_b32_e32 v10, 2, v10
	s_sub_co_i32 s0, s0, s4
	s_wait_alu 0xfffe
	v_add_nc_u32_e32 v1, s0, v1
	v_cmp_lt_i32_e64 s1, 5, v15
	v_cmp_eq_u32_e64 s2, 3, v15
	s_delay_alu instid0(VALU_DEP_1)
	s_or_b32 vcc_lo, s2, s1
	s_wait_alu 0xfffe
	v_add_co_ci_u32_e32 v10, vcc_lo, 0, v10, vcc_lo
	v_cmp_gt_i32_e32 vcc_lo, 31, v11
	s_wait_alu 0xfffd
	v_cndmask_b32_e32 v12, 0x7c00, v12, vcc_lo
	v_cmp_gt_i32_e32 vcc_lo, 31, v13
	s_wait_alu 0xfffd
	v_cndmask_b32_e32 v10, 0x7c00, v10, vcc_lo
	v_cmp_eq_u32_e32 vcc_lo, 0x40f, v11
	s_wait_alu 0xfffd
	v_cndmask_b32_e32 v4, v12, v4, vcc_lo
	v_cmp_eq_u32_e32 vcc_lo, 0x40f, v13
	s_delay_alu instid0(VALU_DEP_2) | instskip(SKIP_2) | instid1(VALU_DEP_2)
	v_and_or_b32 v4, 0x8000, v5, v4
	s_wait_alu 0xfffd
	v_cndmask_b32_e32 v6, v10, v6, vcc_lo
	v_and_b32_e32 v4, 0xffff, v4
	s_delay_alu instid0(VALU_DEP_2) | instskip(NEXT) | instid1(VALU_DEP_1)
	v_and_or_b32 v5, 0x8000, v7, v6
	v_lshl_or_b32 v4, v5, 16, v4
	global_store_b32 v[0:1], v4, off
	global_load_b32 v6, v[8:9], off offset:112
	ds_load_2addr_b32 v[4:5], v46 offset0:28 offset1:43
	s_wait_dscnt 0x0
	v_lshrrev_b32_e32 v7, 16, v4
	s_wait_loadcnt 0x0
	v_lshrrev_b32_e32 v10, 16, v6
	s_delay_alu instid0(VALU_DEP_1) | instskip(SKIP_1) | instid1(VALU_DEP_2)
	v_mul_f16_e32 v11, v7, v10
	v_mul_f16_e32 v10, v4, v10
	v_fmac_f16_e32 v11, v4, v6
	s_delay_alu instid0(VALU_DEP_2) | instskip(NEXT) | instid1(VALU_DEP_2)
	v_fma_f16 v4, v6, v7, -v10
	v_cvt_f32_f16_e32 v6, v11
	s_delay_alu instid0(VALU_DEP_2) | instskip(NEXT) | instid1(VALU_DEP_2)
	v_cvt_f32_f16_e32 v4, v4
	v_cvt_f64_f32_e32 v[6:7], v6
	s_delay_alu instid0(VALU_DEP_2) | instskip(NEXT) | instid1(VALU_DEP_2)
	v_cvt_f64_f32_e32 v[10:11], v4
	v_mul_f64_e32 v[6:7], s[8:9], v[6:7]
	s_delay_alu instid0(VALU_DEP_2) | instskip(NEXT) | instid1(VALU_DEP_2)
	v_mul_f64_e32 v[10:11], s[8:9], v[10:11]
	v_and_or_b32 v4, 0x1ff, v7, v6
	s_delay_alu instid0(VALU_DEP_2)
	v_and_or_b32 v10, 0x1ff, v11, v10
	v_lshrrev_b32_e32 v6, 8, v7
	v_bfe_u32 v14, v7, 20, 11
	v_lshrrev_b32_e32 v12, 8, v11
	v_cmp_ne_u32_e32 vcc_lo, 0, v4
	v_bfe_u32 v15, v11, 20, 11
	v_lshrrev_b32_e32 v7, 16, v7
	v_sub_nc_u32_e32 v13, 0x3f1, v14
	v_lshrrev_b32_e32 v11, 16, v11
	s_wait_alu 0xfffd
	v_cndmask_b32_e64 v4, 0, 1, vcc_lo
	v_cmp_ne_u32_e32 vcc_lo, 0, v10
	v_sub_nc_u32_e32 v16, 0x3f1, v15
	v_add_nc_u32_e32 v15, 0xfffffc10, v15
	s_delay_alu instid0(VALU_DEP_4)
	v_and_or_b32 v6, 0xffe, v6, v4
	s_wait_alu 0xfffd
	v_cndmask_b32_e64 v10, 0, 1, vcc_lo
	v_med3_i32 v4, v13, 0, 13
	v_med3_i32 v16, v16, 0, 13
	v_or_b32_e32 v17, 0x1000, v6
	s_delay_alu instid0(VALU_DEP_4) | instskip(SKIP_1) | instid1(VALU_DEP_3)
	v_and_or_b32 v10, 0xffe, v12, v10
	v_mad_co_u64_u32 v[12:13], null, s4, v51, 0
	v_lshrrev_b32_e32 v19, v4, v17
	s_delay_alu instid0(VALU_DEP_3) | instskip(NEXT) | instid1(VALU_DEP_2)
	v_or_b32_e32 v18, 0x1000, v10
	v_lshlrev_b32_e32 v21, v4, v19
	s_delay_alu instid0(VALU_DEP_2) | instskip(SKIP_1) | instid1(VALU_DEP_3)
	v_lshrrev_b32_e32 v20, v16, v18
	v_mov_b32_e32 v4, v13
	v_cmp_ne_u32_e32 vcc_lo, v21, v17
	s_delay_alu instid0(VALU_DEP_3) | instskip(SKIP_3) | instid1(VALU_DEP_3)
	v_lshlrev_b32_e32 v13, v16, v20
	v_add_nc_u32_e32 v16, 0xfffffc10, v14
	s_wait_alu 0xfffd
	v_cndmask_b32_e64 v17, 0, 1, vcc_lo
	v_cmp_ne_u32_e32 vcc_lo, v13, v18
	v_mad_co_u64_u32 v[13:14], null, s5, v51, v[4:5]
	v_lshl_or_b32 v4, v16, 12, v6
	s_delay_alu instid0(VALU_DEP_4) | instskip(SKIP_4) | instid1(VALU_DEP_3)
	v_or_b32_e32 v14, v19, v17
	s_wait_alu 0xfffd
	v_cndmask_b32_e64 v18, 0, 1, vcc_lo
	v_cmp_gt_i32_e32 vcc_lo, 1, v16
	v_lshl_or_b32 v17, v15, 12, v10
	v_or_b32_e32 v18, v20, v18
	s_wait_alu 0xfffd
	v_cndmask_b32_e32 v4, v4, v14, vcc_lo
	v_cmp_gt_i32_e32 vcc_lo, 1, v15
	s_wait_alu 0xfffd
	s_delay_alu instid0(VALU_DEP_2) | instskip(SKIP_2) | instid1(VALU_DEP_3)
	v_dual_cndmask_b32 v14, v17, v18 :: v_dual_and_b32 v17, 7, v4
	v_cmp_ne_u32_e32 vcc_lo, 0, v6
	v_lshrrev_b32_e32 v4, 2, v4
	v_and_b32_e32 v18, 7, v14
	s_delay_alu instid0(VALU_DEP_4)
	v_cmp_eq_u32_e64 s0, 3, v17
	s_wait_alu 0xfffd
	v_cndmask_b32_e64 v6, 0, 1, vcc_lo
	v_cmp_ne_u32_e32 vcc_lo, 0, v10
	v_lshrrev_b32_e32 v14, 2, v14
	v_cmp_lt_i32_e64 s1, 5, v18
	v_cmp_eq_u32_e64 s2, 3, v18
	v_lshl_or_b32 v6, v6, 9, 0x7c00
	s_wait_alu 0xfffd
	v_cndmask_b32_e64 v10, 0, 1, vcc_lo
	v_cmp_lt_i32_e32 vcc_lo, 5, v17
	s_delay_alu instid0(VALU_DEP_2)
	v_lshl_or_b32 v10, v10, 9, 0x7c00
	s_or_b32 vcc_lo, s0, vcc_lo
	s_wait_alu 0xfffe
	v_add_co_ci_u32_e32 v4, vcc_lo, 0, v4, vcc_lo
	s_or_b32 vcc_lo, s2, s1
	s_wait_alu 0xfffe
	v_add_co_ci_u32_e32 v14, vcc_lo, 0, v14, vcc_lo
	v_cmp_gt_i32_e32 vcc_lo, 31, v16
	s_wait_alu 0xfffd
	v_cndmask_b32_e32 v4, 0x7c00, v4, vcc_lo
	v_cmp_gt_i32_e32 vcc_lo, 31, v15
	s_wait_alu 0xfffd
	v_cndmask_b32_e32 v14, 0x7c00, v14, vcc_lo
	v_cmp_eq_u32_e32 vcc_lo, 0x40f, v16
	s_wait_alu 0xfffd
	v_cndmask_b32_e32 v4, v4, v6, vcc_lo
	v_cmp_eq_u32_e32 vcc_lo, 0x40f, v15
	s_delay_alu instid0(VALU_DEP_2) | instskip(SKIP_3) | instid1(VALU_DEP_3)
	v_and_or_b32 v4, 0x8000, v7, v4
	s_wait_alu 0xfffd
	v_cndmask_b32_e32 v10, v14, v10, vcc_lo
	v_lshlrev_b64_e32 v[6:7], 2, v[12:13]
	v_and_b32_e32 v4, 0xffff, v4
	s_delay_alu instid0(VALU_DEP_3) | instskip(NEXT) | instid1(VALU_DEP_3)
	v_and_or_b32 v10, 0x8000, v11, v10
	v_add_co_u32 v6, vcc_lo, v2, v6
	s_wait_alu 0xfffd
	s_delay_alu instid0(VALU_DEP_4) | instskip(NEXT) | instid1(VALU_DEP_3)
	v_add_co_ci_u32_e32 v7, vcc_lo, v3, v7, vcc_lo
	v_lshl_or_b32 v4, v10, 16, v4
	global_store_b32 v[6:7], v4, off
	global_load_b32 v4, v[8:9], off offset:172
	v_lshrrev_b32_e32 v6, 16, v5
	s_wait_loadcnt 0x0
	v_lshrrev_b32_e32 v7, 16, v4
	s_delay_alu instid0(VALU_DEP_1) | instskip(SKIP_1) | instid1(VALU_DEP_2)
	v_mul_f16_e32 v10, v6, v7
	v_mul_f16_e32 v7, v5, v7
	v_fmac_f16_e32 v10, v5, v4
	s_delay_alu instid0(VALU_DEP_2) | instskip(NEXT) | instid1(VALU_DEP_2)
	v_fma_f16 v4, v4, v6, -v7
	v_cvt_f32_f16_e32 v5, v10
	s_delay_alu instid0(VALU_DEP_2) | instskip(NEXT) | instid1(VALU_DEP_2)
	v_cvt_f32_f16_e32 v6, v4
	v_cvt_f64_f32_e32 v[4:5], v5
	s_delay_alu instid0(VALU_DEP_2) | instskip(NEXT) | instid1(VALU_DEP_2)
	v_cvt_f64_f32_e32 v[6:7], v6
	v_mul_f64_e32 v[4:5], s[8:9], v[4:5]
	s_delay_alu instid0(VALU_DEP_2) | instskip(NEXT) | instid1(VALU_DEP_2)
	v_mul_f64_e32 v[6:7], s[8:9], v[6:7]
	v_and_or_b32 v4, 0x1ff, v5, v4
	s_delay_alu instid0(VALU_DEP_2)
	v_and_or_b32 v6, 0x1ff, v7, v6
	v_lshrrev_b32_e32 v10, 8, v5
	v_bfe_u32 v11, v5, 20, 11
	v_lshrrev_b32_e32 v12, 8, v7
	v_cmp_ne_u32_e32 vcc_lo, 0, v4
	v_bfe_u32 v13, v7, 20, 11
	v_lshrrev_b32_e32 v5, 16, v5
	v_sub_nc_u32_e32 v14, 0x3f1, v11
	v_add_nc_u32_e32 v11, 0xfffffc10, v11
	s_wait_alu 0xfffd
	v_cndmask_b32_e64 v4, 0, 1, vcc_lo
	v_cmp_ne_u32_e32 vcc_lo, 0, v6
	v_lshrrev_b32_e32 v7, 16, v7
	s_delay_alu instid0(VALU_DEP_3) | instskip(SKIP_4) | instid1(VALU_DEP_3)
	v_and_or_b32 v4, 0xffe, v10, v4
	s_wait_alu 0xfffd
	v_cndmask_b32_e64 v6, 0, 1, vcc_lo
	v_sub_nc_u32_e32 v10, 0x3f1, v13
	v_add_nc_u32_e32 v13, 0xfffffc10, v13
	v_and_or_b32 v6, 0xffe, v12, v6
	v_med3_i32 v12, v14, 0, 13
	v_or_b32_e32 v14, 0x1000, v4
	v_med3_i32 v10, v10, 0, 13
	s_delay_alu instid0(VALU_DEP_4) | instskip(NEXT) | instid1(VALU_DEP_3)
	v_or_b32_e32 v15, 0x1000, v6
	v_lshrrev_b32_e32 v16, v12, v14
	s_delay_alu instid0(VALU_DEP_2) | instskip(NEXT) | instid1(VALU_DEP_2)
	v_lshrrev_b32_e32 v17, v10, v15
	v_lshlrev_b32_e32 v12, v12, v16
	s_delay_alu instid0(VALU_DEP_2) | instskip(NEXT) | instid1(VALU_DEP_2)
	v_lshlrev_b32_e32 v10, v10, v17
	v_cmp_ne_u32_e32 vcc_lo, v12, v14
	v_lshl_or_b32 v14, v11, 12, v4
	s_wait_alu 0xfffd
	v_cndmask_b32_e64 v12, 0, 1, vcc_lo
	v_cmp_ne_u32_e32 vcc_lo, v10, v15
	v_lshl_or_b32 v15, v13, 12, v6
	s_delay_alu instid0(VALU_DEP_3) | instskip(SKIP_3) | instid1(VALU_DEP_2)
	v_or_b32_e32 v12, v16, v12
	s_wait_alu 0xfffd
	v_cndmask_b32_e64 v10, 0, 1, vcc_lo
	v_cmp_gt_i32_e32 vcc_lo, 1, v11
	v_or_b32_e32 v10, v17, v10
	s_wait_alu 0xfffd
	v_cndmask_b32_e32 v12, v14, v12, vcc_lo
	v_cmp_gt_i32_e32 vcc_lo, 1, v13
	s_delay_alu instid0(VALU_DEP_2)
	v_and_b32_e32 v14, 7, v12
	s_wait_alu 0xfffd
	v_cndmask_b32_e32 v10, v15, v10, vcc_lo
	v_cmp_ne_u32_e32 vcc_lo, 0, v4
	v_lshrrev_b32_e32 v12, 2, v12
	v_cmp_eq_u32_e64 s0, 3, v14
	s_delay_alu instid0(VALU_DEP_4)
	v_and_b32_e32 v15, 7, v10
	s_wait_alu 0xfffd
	v_cndmask_b32_e64 v4, 0, 1, vcc_lo
	v_cmp_ne_u32_e32 vcc_lo, 0, v6
	v_lshrrev_b32_e32 v10, 2, v10
	v_cmp_lt_i32_e64 s1, 5, v15
	v_cmp_eq_u32_e64 s2, 3, v15
	s_wait_alu 0xfffd
	v_cndmask_b32_e64 v6, 0, 1, vcc_lo
	v_cmp_lt_i32_e32 vcc_lo, 5, v14
	v_lshl_or_b32 v4, v4, 9, 0x7c00
	s_delay_alu instid0(VALU_DEP_3)
	v_lshl_or_b32 v6, v6, 9, 0x7c00
	s_or_b32 vcc_lo, s0, vcc_lo
	s_wait_alu 0xfffe
	v_add_co_ci_u32_e32 v12, vcc_lo, 0, v12, vcc_lo
	s_or_b32 vcc_lo, s2, s1
	s_wait_alu 0xfffe
	v_add_co_ci_u32_e32 v10, vcc_lo, 0, v10, vcc_lo
	v_cmp_gt_i32_e32 vcc_lo, 31, v11
	s_wait_alu 0xfffd
	v_cndmask_b32_e32 v12, 0x7c00, v12, vcc_lo
	v_cmp_gt_i32_e32 vcc_lo, 31, v13
	s_wait_alu 0xfffd
	v_cndmask_b32_e32 v10, 0x7c00, v10, vcc_lo
	v_cmp_eq_u32_e32 vcc_lo, 0x40f, v11
	s_wait_alu 0xfffd
	v_cndmask_b32_e32 v4, v12, v4, vcc_lo
	v_cmp_eq_u32_e32 vcc_lo, 0x40f, v13
	s_delay_alu instid0(VALU_DEP_2)
	v_and_or_b32 v4, 0x8000, v5, v4
	s_wait_alu 0xfffd
	v_cndmask_b32_e32 v6, v10, v6, vcc_lo
	v_add_co_u32 v0, vcc_lo, v0, s6
	s_wait_alu 0xfffd
	v_add_co_ci_u32_e32 v1, vcc_lo, s7, v1, vcc_lo
	s_delay_alu instid0(VALU_DEP_3) | instskip(SKIP_1) | instid1(VALU_DEP_1)
	v_and_or_b32 v5, 0x8000, v7, v6
	v_and_b32_e32 v4, 0xffff, v4
	v_lshl_or_b32 v4, v5, 16, v4
	global_store_b32 v[0:1], v4, off
	global_load_b32 v6, v[8:9], off offset:232
	ds_load_2addr_b32 v[4:5], v46 offset0:58 offset1:73
	s_wait_dscnt 0x0
	v_lshrrev_b32_e32 v7, 16, v4
	s_wait_loadcnt 0x0
	v_lshrrev_b32_e32 v10, 16, v6
	s_delay_alu instid0(VALU_DEP_1) | instskip(SKIP_1) | instid1(VALU_DEP_2)
	v_mul_f16_e32 v11, v7, v10
	v_mul_f16_e32 v10, v4, v10
	v_fmac_f16_e32 v11, v4, v6
	s_delay_alu instid0(VALU_DEP_2) | instskip(NEXT) | instid1(VALU_DEP_2)
	v_fma_f16 v4, v6, v7, -v10
	v_cvt_f32_f16_e32 v6, v11
	s_delay_alu instid0(VALU_DEP_2) | instskip(NEXT) | instid1(VALU_DEP_2)
	v_cvt_f32_f16_e32 v4, v4
	v_cvt_f64_f32_e32 v[6:7], v6
	s_delay_alu instid0(VALU_DEP_2) | instskip(NEXT) | instid1(VALU_DEP_2)
	v_cvt_f64_f32_e32 v[10:11], v4
	v_mul_f64_e32 v[6:7], s[8:9], v[6:7]
	s_delay_alu instid0(VALU_DEP_2) | instskip(NEXT) | instid1(VALU_DEP_2)
	v_mul_f64_e32 v[10:11], s[8:9], v[10:11]
	v_and_or_b32 v4, 0x1ff, v7, v6
	s_delay_alu instid0(VALU_DEP_2)
	v_and_or_b32 v10, 0x1ff, v11, v10
	v_lshrrev_b32_e32 v6, 8, v7
	v_bfe_u32 v14, v7, 20, 11
	v_lshrrev_b32_e32 v12, 8, v11
	v_cmp_ne_u32_e32 vcc_lo, 0, v4
	v_bfe_u32 v15, v11, 20, 11
	v_lshrrev_b32_e32 v7, 16, v7
	v_sub_nc_u32_e32 v13, 0x3f1, v14
	v_lshrrev_b32_e32 v11, 16, v11
	s_wait_alu 0xfffd
	v_cndmask_b32_e64 v4, 0, 1, vcc_lo
	v_cmp_ne_u32_e32 vcc_lo, 0, v10
	v_sub_nc_u32_e32 v16, 0x3f1, v15
	v_add_nc_u32_e32 v15, 0xfffffc10, v15
	s_delay_alu instid0(VALU_DEP_4)
	v_and_or_b32 v6, 0xffe, v6, v4
	s_wait_alu 0xfffd
	v_cndmask_b32_e64 v10, 0, 1, vcc_lo
	v_med3_i32 v4, v13, 0, 13
	v_med3_i32 v16, v16, 0, 13
	v_or_b32_e32 v17, 0x1000, v6
	s_delay_alu instid0(VALU_DEP_4) | instskip(SKIP_1) | instid1(VALU_DEP_3)
	v_and_or_b32 v10, 0xffe, v12, v10
	v_mad_co_u64_u32 v[12:13], null, s4, v50, 0
	v_lshrrev_b32_e32 v19, v4, v17
	s_delay_alu instid0(VALU_DEP_3) | instskip(NEXT) | instid1(VALU_DEP_2)
	v_or_b32_e32 v18, 0x1000, v10
	v_lshlrev_b32_e32 v21, v4, v19
	s_delay_alu instid0(VALU_DEP_2) | instskip(SKIP_1) | instid1(VALU_DEP_3)
	v_lshrrev_b32_e32 v20, v16, v18
	v_mov_b32_e32 v4, v13
	v_cmp_ne_u32_e32 vcc_lo, v21, v17
	s_delay_alu instid0(VALU_DEP_3) | instskip(SKIP_3) | instid1(VALU_DEP_3)
	v_lshlrev_b32_e32 v13, v16, v20
	v_add_nc_u32_e32 v16, 0xfffffc10, v14
	s_wait_alu 0xfffd
	v_cndmask_b32_e64 v17, 0, 1, vcc_lo
	v_cmp_ne_u32_e32 vcc_lo, v13, v18
	v_mad_co_u64_u32 v[13:14], null, s5, v50, v[4:5]
	v_lshl_or_b32 v4, v16, 12, v6
	s_delay_alu instid0(VALU_DEP_4) | instskip(SKIP_4) | instid1(VALU_DEP_3)
	v_or_b32_e32 v14, v19, v17
	s_wait_alu 0xfffd
	v_cndmask_b32_e64 v18, 0, 1, vcc_lo
	v_cmp_gt_i32_e32 vcc_lo, 1, v16
	v_lshl_or_b32 v17, v15, 12, v10
	v_or_b32_e32 v18, v20, v18
	s_wait_alu 0xfffd
	v_cndmask_b32_e32 v4, v4, v14, vcc_lo
	v_cmp_gt_i32_e32 vcc_lo, 1, v15
	s_wait_alu 0xfffd
	v_cndmask_b32_e32 v14, v17, v18, vcc_lo
	v_cmp_ne_u32_e32 vcc_lo, 0, v6
	v_and_b32_e32 v17, 7, v4
	v_lshrrev_b32_e32 v4, 2, v4
	s_delay_alu instid0(VALU_DEP_4)
	v_and_b32_e32 v18, 7, v14
	s_wait_alu 0xfffd
	v_cndmask_b32_e64 v6, 0, 1, vcc_lo
	v_cmp_ne_u32_e32 vcc_lo, 0, v10
	v_cmp_eq_u32_e64 s0, 3, v17
	v_lshrrev_b32_e32 v14, 2, v14
	v_cmp_lt_i32_e64 s1, 5, v18
	v_cmp_eq_u32_e64 s2, 3, v18
	s_wait_alu 0xfffd
	v_cndmask_b32_e64 v10, 0, 1, vcc_lo
	v_cmp_lt_i32_e32 vcc_lo, 5, v17
	v_lshl_or_b32 v6, v6, 9, 0x7c00
	s_delay_alu instid0(VALU_DEP_3)
	v_lshl_or_b32 v10, v10, 9, 0x7c00
	s_or_b32 vcc_lo, s0, vcc_lo
	s_wait_alu 0xfffe
	v_add_co_ci_u32_e32 v4, vcc_lo, 0, v4, vcc_lo
	s_or_b32 vcc_lo, s2, s1
	s_wait_alu 0xfffe
	v_add_co_ci_u32_e32 v14, vcc_lo, 0, v14, vcc_lo
	v_cmp_gt_i32_e32 vcc_lo, 31, v16
	s_wait_alu 0xfffd
	v_cndmask_b32_e32 v4, 0x7c00, v4, vcc_lo
	v_cmp_gt_i32_e32 vcc_lo, 31, v15
	s_wait_alu 0xfffd
	v_cndmask_b32_e32 v14, 0x7c00, v14, vcc_lo
	v_cmp_eq_u32_e32 vcc_lo, 0x40f, v16
	s_wait_alu 0xfffd
	v_cndmask_b32_e32 v4, v4, v6, vcc_lo
	v_cmp_eq_u32_e32 vcc_lo, 0x40f, v15
	s_delay_alu instid0(VALU_DEP_2) | instskip(SKIP_3) | instid1(VALU_DEP_3)
	v_and_or_b32 v4, 0x8000, v7, v4
	s_wait_alu 0xfffd
	v_cndmask_b32_e32 v10, v14, v10, vcc_lo
	v_lshlrev_b64_e32 v[6:7], 2, v[12:13]
	v_and_b32_e32 v4, 0xffff, v4
	s_delay_alu instid0(VALU_DEP_3) | instskip(NEXT) | instid1(VALU_DEP_3)
	v_and_or_b32 v10, 0x8000, v11, v10
	v_add_co_u32 v6, vcc_lo, v2, v6
	s_wait_alu 0xfffd
	s_delay_alu instid0(VALU_DEP_4) | instskip(NEXT) | instid1(VALU_DEP_3)
	v_add_co_ci_u32_e32 v7, vcc_lo, v3, v7, vcc_lo
	v_lshl_or_b32 v4, v10, 16, v4
	global_store_b32 v[6:7], v4, off
	global_load_b32 v4, v[8:9], off offset:292
	v_lshrrev_b32_e32 v6, 16, v5
	s_wait_loadcnt 0x0
	v_lshrrev_b32_e32 v7, 16, v4
	s_delay_alu instid0(VALU_DEP_1) | instskip(SKIP_1) | instid1(VALU_DEP_2)
	v_mul_f16_e32 v10, v6, v7
	v_mul_f16_e32 v7, v5, v7
	v_fmac_f16_e32 v10, v5, v4
	s_delay_alu instid0(VALU_DEP_2) | instskip(NEXT) | instid1(VALU_DEP_2)
	v_fma_f16 v4, v4, v6, -v7
	v_cvt_f32_f16_e32 v5, v10
	s_delay_alu instid0(VALU_DEP_2) | instskip(NEXT) | instid1(VALU_DEP_2)
	v_cvt_f32_f16_e32 v6, v4
	v_cvt_f64_f32_e32 v[4:5], v5
	s_delay_alu instid0(VALU_DEP_2) | instskip(NEXT) | instid1(VALU_DEP_2)
	v_cvt_f64_f32_e32 v[6:7], v6
	v_mul_f64_e32 v[4:5], s[8:9], v[4:5]
	s_delay_alu instid0(VALU_DEP_2) | instskip(NEXT) | instid1(VALU_DEP_2)
	v_mul_f64_e32 v[6:7], s[8:9], v[6:7]
	v_and_or_b32 v4, 0x1ff, v5, v4
	s_delay_alu instid0(VALU_DEP_2)
	v_and_or_b32 v6, 0x1ff, v7, v6
	v_lshrrev_b32_e32 v10, 8, v5
	v_bfe_u32 v11, v5, 20, 11
	v_lshrrev_b32_e32 v12, 8, v7
	v_cmp_ne_u32_e32 vcc_lo, 0, v4
	v_bfe_u32 v13, v7, 20, 11
	v_lshrrev_b32_e32 v5, 16, v5
	v_sub_nc_u32_e32 v14, 0x3f1, v11
	v_add_nc_u32_e32 v11, 0xfffffc10, v11
	s_wait_alu 0xfffd
	v_cndmask_b32_e64 v4, 0, 1, vcc_lo
	v_cmp_ne_u32_e32 vcc_lo, 0, v6
	v_lshrrev_b32_e32 v7, 16, v7
	s_delay_alu instid0(VALU_DEP_3) | instskip(SKIP_4) | instid1(VALU_DEP_3)
	v_and_or_b32 v4, 0xffe, v10, v4
	s_wait_alu 0xfffd
	v_cndmask_b32_e64 v6, 0, 1, vcc_lo
	v_sub_nc_u32_e32 v10, 0x3f1, v13
	v_add_nc_u32_e32 v13, 0xfffffc10, v13
	v_and_or_b32 v6, 0xffe, v12, v6
	v_med3_i32 v12, v14, 0, 13
	v_or_b32_e32 v14, 0x1000, v4
	v_med3_i32 v10, v10, 0, 13
	s_delay_alu instid0(VALU_DEP_4) | instskip(NEXT) | instid1(VALU_DEP_3)
	v_or_b32_e32 v15, 0x1000, v6
	v_lshrrev_b32_e32 v16, v12, v14
	s_delay_alu instid0(VALU_DEP_2) | instskip(NEXT) | instid1(VALU_DEP_2)
	v_lshrrev_b32_e32 v17, v10, v15
	v_lshlrev_b32_e32 v12, v12, v16
	s_delay_alu instid0(VALU_DEP_2) | instskip(NEXT) | instid1(VALU_DEP_2)
	v_lshlrev_b32_e32 v10, v10, v17
	v_cmp_ne_u32_e32 vcc_lo, v12, v14
	v_lshl_or_b32 v14, v11, 12, v4
	s_wait_alu 0xfffd
	v_cndmask_b32_e64 v12, 0, 1, vcc_lo
	v_cmp_ne_u32_e32 vcc_lo, v10, v15
	v_lshl_or_b32 v15, v13, 12, v6
	s_delay_alu instid0(VALU_DEP_3) | instskip(SKIP_3) | instid1(VALU_DEP_2)
	v_or_b32_e32 v12, v16, v12
	s_wait_alu 0xfffd
	v_cndmask_b32_e64 v10, 0, 1, vcc_lo
	v_cmp_gt_i32_e32 vcc_lo, 1, v11
	v_or_b32_e32 v10, v17, v10
	s_wait_alu 0xfffd
	v_cndmask_b32_e32 v12, v14, v12, vcc_lo
	v_cmp_gt_i32_e32 vcc_lo, 1, v13
	s_delay_alu instid0(VALU_DEP_2)
	v_and_b32_e32 v14, 7, v12
	s_wait_alu 0xfffd
	v_cndmask_b32_e32 v10, v15, v10, vcc_lo
	v_cmp_ne_u32_e32 vcc_lo, 0, v4
	v_lshrrev_b32_e32 v12, 2, v12
	v_cmp_eq_u32_e64 s0, 3, v14
	s_delay_alu instid0(VALU_DEP_4)
	v_and_b32_e32 v15, 7, v10
	s_wait_alu 0xfffd
	v_cndmask_b32_e64 v4, 0, 1, vcc_lo
	v_cmp_ne_u32_e32 vcc_lo, 0, v6
	v_lshrrev_b32_e32 v10, 2, v10
	v_cmp_lt_i32_e64 s1, 5, v15
	v_cmp_eq_u32_e64 s2, 3, v15
	s_wait_alu 0xfffd
	v_cndmask_b32_e64 v6, 0, 1, vcc_lo
	v_cmp_lt_i32_e32 vcc_lo, 5, v14
	v_lshl_or_b32 v4, v4, 9, 0x7c00
	s_delay_alu instid0(VALU_DEP_3)
	v_lshl_or_b32 v6, v6, 9, 0x7c00
	s_or_b32 vcc_lo, s0, vcc_lo
	s_wait_alu 0xfffe
	v_add_co_ci_u32_e32 v12, vcc_lo, 0, v12, vcc_lo
	s_or_b32 vcc_lo, s2, s1
	s_wait_alu 0xfffe
	v_add_co_ci_u32_e32 v10, vcc_lo, 0, v10, vcc_lo
	v_cmp_gt_i32_e32 vcc_lo, 31, v11
	s_wait_alu 0xfffd
	v_cndmask_b32_e32 v12, 0x7c00, v12, vcc_lo
	v_cmp_gt_i32_e32 vcc_lo, 31, v13
	s_wait_alu 0xfffd
	v_cndmask_b32_e32 v10, 0x7c00, v10, vcc_lo
	v_cmp_eq_u32_e32 vcc_lo, 0x40f, v11
	s_wait_alu 0xfffd
	v_cndmask_b32_e32 v4, v12, v4, vcc_lo
	v_cmp_eq_u32_e32 vcc_lo, 0x40f, v13
	s_delay_alu instid0(VALU_DEP_2)
	v_and_or_b32 v4, 0x8000, v5, v4
	s_wait_alu 0xfffd
	v_cndmask_b32_e32 v6, v10, v6, vcc_lo
	v_add_co_u32 v0, vcc_lo, v0, s6
	s_wait_alu 0xfffd
	v_add_co_ci_u32_e32 v1, vcc_lo, s7, v1, vcc_lo
	s_delay_alu instid0(VALU_DEP_3) | instskip(SKIP_1) | instid1(VALU_DEP_1)
	v_and_or_b32 v5, 0x8000, v7, v6
	v_and_b32_e32 v4, 0xffff, v4
	v_lshl_or_b32 v4, v5, 16, v4
	global_store_b32 v[0:1], v4, off
	global_load_b32 v6, v[8:9], off offset:352
	ds_load_2addr_b32 v[4:5], v46 offset0:88 offset1:103
	s_wait_dscnt 0x0
	v_lshrrev_b32_e32 v7, 16, v4
	s_wait_loadcnt 0x0
	v_lshrrev_b32_e32 v10, 16, v6
	s_delay_alu instid0(VALU_DEP_1) | instskip(SKIP_1) | instid1(VALU_DEP_2)
	v_mul_f16_e32 v11, v7, v10
	v_mul_f16_e32 v10, v4, v10
	v_fmac_f16_e32 v11, v4, v6
	s_delay_alu instid0(VALU_DEP_2) | instskip(NEXT) | instid1(VALU_DEP_2)
	v_fma_f16 v4, v6, v7, -v10
	v_cvt_f32_f16_e32 v6, v11
	s_delay_alu instid0(VALU_DEP_2) | instskip(NEXT) | instid1(VALU_DEP_2)
	v_cvt_f32_f16_e32 v4, v4
	v_cvt_f64_f32_e32 v[6:7], v6
	s_delay_alu instid0(VALU_DEP_2) | instskip(NEXT) | instid1(VALU_DEP_2)
	v_cvt_f64_f32_e32 v[10:11], v4
	v_mul_f64_e32 v[6:7], s[8:9], v[6:7]
	s_delay_alu instid0(VALU_DEP_2) | instskip(NEXT) | instid1(VALU_DEP_2)
	v_mul_f64_e32 v[10:11], s[8:9], v[10:11]
	v_and_or_b32 v4, 0x1ff, v7, v6
	s_delay_alu instid0(VALU_DEP_2)
	v_and_or_b32 v10, 0x1ff, v11, v10
	v_lshrrev_b32_e32 v6, 8, v7
	v_bfe_u32 v14, v7, 20, 11
	v_lshrrev_b32_e32 v12, 8, v11
	v_cmp_ne_u32_e32 vcc_lo, 0, v4
	v_bfe_u32 v15, v11, 20, 11
	v_lshrrev_b32_e32 v7, 16, v7
	v_sub_nc_u32_e32 v13, 0x3f1, v14
	v_lshrrev_b32_e32 v11, 16, v11
	s_wait_alu 0xfffd
	v_cndmask_b32_e64 v4, 0, 1, vcc_lo
	v_cmp_ne_u32_e32 vcc_lo, 0, v10
	v_sub_nc_u32_e32 v16, 0x3f1, v15
	v_add_nc_u32_e32 v15, 0xfffffc10, v15
	s_delay_alu instid0(VALU_DEP_4)
	v_and_or_b32 v6, 0xffe, v6, v4
	s_wait_alu 0xfffd
	v_cndmask_b32_e64 v10, 0, 1, vcc_lo
	v_med3_i32 v4, v13, 0, 13
	v_med3_i32 v16, v16, 0, 13
	v_or_b32_e32 v17, 0x1000, v6
	s_delay_alu instid0(VALU_DEP_4) | instskip(SKIP_1) | instid1(VALU_DEP_3)
	v_and_or_b32 v10, 0xffe, v12, v10
	v_mad_co_u64_u32 v[12:13], null, s4, v49, 0
	v_lshrrev_b32_e32 v19, v4, v17
	s_delay_alu instid0(VALU_DEP_3) | instskip(NEXT) | instid1(VALU_DEP_2)
	v_or_b32_e32 v18, 0x1000, v10
	v_lshlrev_b32_e32 v21, v4, v19
	s_delay_alu instid0(VALU_DEP_2) | instskip(SKIP_1) | instid1(VALU_DEP_3)
	v_lshrrev_b32_e32 v20, v16, v18
	v_mov_b32_e32 v4, v13
	v_cmp_ne_u32_e32 vcc_lo, v21, v17
	s_delay_alu instid0(VALU_DEP_3) | instskip(SKIP_3) | instid1(VALU_DEP_3)
	v_lshlrev_b32_e32 v13, v16, v20
	v_add_nc_u32_e32 v16, 0xfffffc10, v14
	s_wait_alu 0xfffd
	v_cndmask_b32_e64 v17, 0, 1, vcc_lo
	v_cmp_ne_u32_e32 vcc_lo, v13, v18
	v_mad_co_u64_u32 v[13:14], null, s5, v49, v[4:5]
	v_lshl_or_b32 v4, v16, 12, v6
	s_delay_alu instid0(VALU_DEP_4) | instskip(SKIP_4) | instid1(VALU_DEP_3)
	v_or_b32_e32 v14, v19, v17
	s_wait_alu 0xfffd
	v_cndmask_b32_e64 v18, 0, 1, vcc_lo
	v_cmp_gt_i32_e32 vcc_lo, 1, v16
	v_lshl_or_b32 v17, v15, 12, v10
	v_or_b32_e32 v18, v20, v18
	s_wait_alu 0xfffd
	v_cndmask_b32_e32 v4, v4, v14, vcc_lo
	v_cmp_gt_i32_e32 vcc_lo, 1, v15
	s_wait_alu 0xfffd
	v_cndmask_b32_e32 v14, v17, v18, vcc_lo
	v_cmp_ne_u32_e32 vcc_lo, 0, v6
	v_and_b32_e32 v17, 7, v4
	v_lshrrev_b32_e32 v4, 2, v4
	s_delay_alu instid0(VALU_DEP_4)
	v_and_b32_e32 v18, 7, v14
	s_wait_alu 0xfffd
	v_cndmask_b32_e64 v6, 0, 1, vcc_lo
	v_cmp_ne_u32_e32 vcc_lo, 0, v10
	v_cmp_eq_u32_e64 s0, 3, v17
	v_lshrrev_b32_e32 v14, 2, v14
	v_cmp_lt_i32_e64 s1, 5, v18
	v_cmp_eq_u32_e64 s2, 3, v18
	s_wait_alu 0xfffd
	v_cndmask_b32_e64 v10, 0, 1, vcc_lo
	v_cmp_lt_i32_e32 vcc_lo, 5, v17
	v_lshl_or_b32 v6, v6, 9, 0x7c00
	s_delay_alu instid0(VALU_DEP_3)
	v_lshl_or_b32 v10, v10, 9, 0x7c00
	s_or_b32 vcc_lo, s0, vcc_lo
	s_wait_alu 0xfffe
	v_add_co_ci_u32_e32 v4, vcc_lo, 0, v4, vcc_lo
	s_or_b32 vcc_lo, s2, s1
	s_wait_alu 0xfffe
	v_add_co_ci_u32_e32 v14, vcc_lo, 0, v14, vcc_lo
	v_cmp_gt_i32_e32 vcc_lo, 31, v16
	s_wait_alu 0xfffd
	v_cndmask_b32_e32 v4, 0x7c00, v4, vcc_lo
	v_cmp_gt_i32_e32 vcc_lo, 31, v15
	s_wait_alu 0xfffd
	v_cndmask_b32_e32 v14, 0x7c00, v14, vcc_lo
	v_cmp_eq_u32_e32 vcc_lo, 0x40f, v16
	s_wait_alu 0xfffd
	v_cndmask_b32_e32 v4, v4, v6, vcc_lo
	v_cmp_eq_u32_e32 vcc_lo, 0x40f, v15
	s_delay_alu instid0(VALU_DEP_2) | instskip(SKIP_3) | instid1(VALU_DEP_3)
	v_and_or_b32 v4, 0x8000, v7, v4
	s_wait_alu 0xfffd
	v_cndmask_b32_e32 v10, v14, v10, vcc_lo
	v_lshlrev_b64_e32 v[6:7], 2, v[12:13]
	v_and_b32_e32 v4, 0xffff, v4
	s_delay_alu instid0(VALU_DEP_3) | instskip(NEXT) | instid1(VALU_DEP_3)
	v_and_or_b32 v10, 0x8000, v11, v10
	v_add_co_u32 v6, vcc_lo, v2, v6
	s_wait_alu 0xfffd
	s_delay_alu instid0(VALU_DEP_4) | instskip(NEXT) | instid1(VALU_DEP_3)
	v_add_co_ci_u32_e32 v7, vcc_lo, v3, v7, vcc_lo
	v_lshl_or_b32 v4, v10, 16, v4
	global_store_b32 v[6:7], v4, off
	global_load_b32 v4, v[8:9], off offset:412
	v_lshrrev_b32_e32 v6, 16, v5
	s_wait_loadcnt 0x0
	v_lshrrev_b32_e32 v7, 16, v4
	s_delay_alu instid0(VALU_DEP_1) | instskip(SKIP_1) | instid1(VALU_DEP_2)
	v_mul_f16_e32 v10, v6, v7
	v_mul_f16_e32 v7, v5, v7
	v_fmac_f16_e32 v10, v5, v4
	s_delay_alu instid0(VALU_DEP_2) | instskip(NEXT) | instid1(VALU_DEP_2)
	v_fma_f16 v4, v4, v6, -v7
	v_cvt_f32_f16_e32 v5, v10
	s_delay_alu instid0(VALU_DEP_2) | instskip(NEXT) | instid1(VALU_DEP_2)
	v_cvt_f32_f16_e32 v6, v4
	v_cvt_f64_f32_e32 v[4:5], v5
	s_delay_alu instid0(VALU_DEP_2) | instskip(NEXT) | instid1(VALU_DEP_2)
	v_cvt_f64_f32_e32 v[6:7], v6
	v_mul_f64_e32 v[4:5], s[8:9], v[4:5]
	s_delay_alu instid0(VALU_DEP_2) | instskip(NEXT) | instid1(VALU_DEP_2)
	v_mul_f64_e32 v[6:7], s[8:9], v[6:7]
	v_and_or_b32 v4, 0x1ff, v5, v4
	s_delay_alu instid0(VALU_DEP_2)
	v_and_or_b32 v6, 0x1ff, v7, v6
	v_lshrrev_b32_e32 v10, 8, v5
	v_bfe_u32 v11, v5, 20, 11
	v_lshrrev_b32_e32 v12, 8, v7
	v_cmp_ne_u32_e32 vcc_lo, 0, v4
	v_bfe_u32 v13, v7, 20, 11
	v_lshrrev_b32_e32 v5, 16, v5
	v_sub_nc_u32_e32 v14, 0x3f1, v11
	v_add_nc_u32_e32 v11, 0xfffffc10, v11
	s_wait_alu 0xfffd
	v_cndmask_b32_e64 v4, 0, 1, vcc_lo
	v_cmp_ne_u32_e32 vcc_lo, 0, v6
	v_lshrrev_b32_e32 v7, 16, v7
	s_delay_alu instid0(VALU_DEP_3) | instskip(SKIP_4) | instid1(VALU_DEP_3)
	v_and_or_b32 v4, 0xffe, v10, v4
	s_wait_alu 0xfffd
	v_cndmask_b32_e64 v6, 0, 1, vcc_lo
	v_sub_nc_u32_e32 v10, 0x3f1, v13
	v_add_nc_u32_e32 v13, 0xfffffc10, v13
	v_and_or_b32 v6, 0xffe, v12, v6
	v_med3_i32 v12, v14, 0, 13
	v_or_b32_e32 v14, 0x1000, v4
	v_med3_i32 v10, v10, 0, 13
	s_delay_alu instid0(VALU_DEP_4) | instskip(NEXT) | instid1(VALU_DEP_3)
	v_or_b32_e32 v15, 0x1000, v6
	v_lshrrev_b32_e32 v16, v12, v14
	s_delay_alu instid0(VALU_DEP_2) | instskip(NEXT) | instid1(VALU_DEP_2)
	v_lshrrev_b32_e32 v17, v10, v15
	v_lshlrev_b32_e32 v12, v12, v16
	s_delay_alu instid0(VALU_DEP_2) | instskip(NEXT) | instid1(VALU_DEP_2)
	v_lshlrev_b32_e32 v10, v10, v17
	v_cmp_ne_u32_e32 vcc_lo, v12, v14
	v_lshl_or_b32 v14, v11, 12, v4
	s_wait_alu 0xfffd
	v_cndmask_b32_e64 v12, 0, 1, vcc_lo
	v_cmp_ne_u32_e32 vcc_lo, v10, v15
	v_lshl_or_b32 v15, v13, 12, v6
	s_delay_alu instid0(VALU_DEP_3) | instskip(SKIP_3) | instid1(VALU_DEP_2)
	v_or_b32_e32 v12, v16, v12
	s_wait_alu 0xfffd
	v_cndmask_b32_e64 v10, 0, 1, vcc_lo
	v_cmp_gt_i32_e32 vcc_lo, 1, v11
	v_or_b32_e32 v10, v17, v10
	s_wait_alu 0xfffd
	v_cndmask_b32_e32 v12, v14, v12, vcc_lo
	v_cmp_gt_i32_e32 vcc_lo, 1, v13
	s_delay_alu instid0(VALU_DEP_2)
	v_and_b32_e32 v14, 7, v12
	s_wait_alu 0xfffd
	v_cndmask_b32_e32 v10, v15, v10, vcc_lo
	v_cmp_ne_u32_e32 vcc_lo, 0, v4
	v_lshrrev_b32_e32 v12, 2, v12
	v_cmp_eq_u32_e64 s0, 3, v14
	s_delay_alu instid0(VALU_DEP_4)
	v_and_b32_e32 v15, 7, v10
	s_wait_alu 0xfffd
	v_cndmask_b32_e64 v4, 0, 1, vcc_lo
	v_cmp_ne_u32_e32 vcc_lo, 0, v6
	v_lshrrev_b32_e32 v10, 2, v10
	v_cmp_lt_i32_e64 s1, 5, v15
	v_cmp_eq_u32_e64 s2, 3, v15
	s_wait_alu 0xfffd
	v_cndmask_b32_e64 v6, 0, 1, vcc_lo
	v_cmp_lt_i32_e32 vcc_lo, 5, v14
	v_lshl_or_b32 v4, v4, 9, 0x7c00
	s_delay_alu instid0(VALU_DEP_3)
	v_lshl_or_b32 v6, v6, 9, 0x7c00
	s_or_b32 vcc_lo, s0, vcc_lo
	s_wait_alu 0xfffe
	v_add_co_ci_u32_e32 v12, vcc_lo, 0, v12, vcc_lo
	s_or_b32 vcc_lo, s2, s1
	s_wait_alu 0xfffe
	v_add_co_ci_u32_e32 v10, vcc_lo, 0, v10, vcc_lo
	v_cmp_gt_i32_e32 vcc_lo, 31, v11
	s_wait_alu 0xfffd
	v_cndmask_b32_e32 v12, 0x7c00, v12, vcc_lo
	v_cmp_gt_i32_e32 vcc_lo, 31, v13
	s_wait_alu 0xfffd
	v_cndmask_b32_e32 v10, 0x7c00, v10, vcc_lo
	v_cmp_eq_u32_e32 vcc_lo, 0x40f, v11
	s_wait_alu 0xfffd
	v_cndmask_b32_e32 v4, v12, v4, vcc_lo
	v_cmp_eq_u32_e32 vcc_lo, 0x40f, v13
	s_delay_alu instid0(VALU_DEP_2)
	v_and_or_b32 v4, 0x8000, v5, v4
	s_wait_alu 0xfffd
	v_cndmask_b32_e32 v6, v10, v6, vcc_lo
	v_add_co_u32 v0, vcc_lo, v0, s6
	s_wait_alu 0xfffd
	v_add_co_ci_u32_e32 v1, vcc_lo, s7, v1, vcc_lo
	s_delay_alu instid0(VALU_DEP_3) | instskip(SKIP_1) | instid1(VALU_DEP_1)
	v_and_or_b32 v5, 0x8000, v7, v6
	v_and_b32_e32 v4, 0xffff, v4
	v_lshl_or_b32 v4, v5, 16, v4
	global_store_b32 v[0:1], v4, off
	global_load_b32 v6, v[8:9], off offset:472
	ds_load_2addr_b32 v[4:5], v46 offset0:118 offset1:133
	s_wait_dscnt 0x0
	v_lshrrev_b32_e32 v7, 16, v4
	s_wait_loadcnt 0x0
	v_lshrrev_b32_e32 v10, 16, v6
	s_delay_alu instid0(VALU_DEP_1) | instskip(SKIP_1) | instid1(VALU_DEP_2)
	v_mul_f16_e32 v11, v7, v10
	v_mul_f16_e32 v10, v4, v10
	v_fmac_f16_e32 v11, v4, v6
	s_delay_alu instid0(VALU_DEP_2) | instskip(NEXT) | instid1(VALU_DEP_2)
	v_fma_f16 v4, v6, v7, -v10
	v_cvt_f32_f16_e32 v6, v11
	s_delay_alu instid0(VALU_DEP_2) | instskip(NEXT) | instid1(VALU_DEP_2)
	v_cvt_f32_f16_e32 v4, v4
	v_cvt_f64_f32_e32 v[6:7], v6
	s_delay_alu instid0(VALU_DEP_2) | instskip(NEXT) | instid1(VALU_DEP_2)
	v_cvt_f64_f32_e32 v[10:11], v4
	v_mul_f64_e32 v[6:7], s[8:9], v[6:7]
	s_delay_alu instid0(VALU_DEP_2) | instskip(NEXT) | instid1(VALU_DEP_2)
	v_mul_f64_e32 v[10:11], s[8:9], v[10:11]
	v_and_or_b32 v4, 0x1ff, v7, v6
	s_delay_alu instid0(VALU_DEP_2)
	v_and_or_b32 v10, 0x1ff, v11, v10
	v_lshrrev_b32_e32 v6, 8, v7
	v_bfe_u32 v14, v7, 20, 11
	v_lshrrev_b32_e32 v12, 8, v11
	v_cmp_ne_u32_e32 vcc_lo, 0, v4
	v_bfe_u32 v15, v11, 20, 11
	v_lshrrev_b32_e32 v7, 16, v7
	v_sub_nc_u32_e32 v13, 0x3f1, v14
	v_lshrrev_b32_e32 v11, 16, v11
	s_wait_alu 0xfffd
	v_cndmask_b32_e64 v4, 0, 1, vcc_lo
	v_cmp_ne_u32_e32 vcc_lo, 0, v10
	v_sub_nc_u32_e32 v16, 0x3f1, v15
	v_add_nc_u32_e32 v15, 0xfffffc10, v15
	s_delay_alu instid0(VALU_DEP_4)
	v_and_or_b32 v6, 0xffe, v6, v4
	s_wait_alu 0xfffd
	v_cndmask_b32_e64 v10, 0, 1, vcc_lo
	v_med3_i32 v4, v13, 0, 13
	v_med3_i32 v16, v16, 0, 13
	v_or_b32_e32 v17, 0x1000, v6
	s_delay_alu instid0(VALU_DEP_4) | instskip(SKIP_1) | instid1(VALU_DEP_3)
	v_and_or_b32 v10, 0xffe, v12, v10
	v_mad_co_u64_u32 v[12:13], null, s4, v48, 0
	v_lshrrev_b32_e32 v19, v4, v17
	s_delay_alu instid0(VALU_DEP_3) | instskip(NEXT) | instid1(VALU_DEP_2)
	v_or_b32_e32 v18, 0x1000, v10
	v_lshlrev_b32_e32 v21, v4, v19
	s_delay_alu instid0(VALU_DEP_2) | instskip(SKIP_1) | instid1(VALU_DEP_3)
	v_lshrrev_b32_e32 v20, v16, v18
	v_mov_b32_e32 v4, v13
	v_cmp_ne_u32_e32 vcc_lo, v21, v17
	s_delay_alu instid0(VALU_DEP_3) | instskip(SKIP_3) | instid1(VALU_DEP_3)
	v_lshlrev_b32_e32 v13, v16, v20
	v_add_nc_u32_e32 v16, 0xfffffc10, v14
	s_wait_alu 0xfffd
	v_cndmask_b32_e64 v17, 0, 1, vcc_lo
	v_cmp_ne_u32_e32 vcc_lo, v13, v18
	v_mad_co_u64_u32 v[13:14], null, s5, v48, v[4:5]
	v_lshl_or_b32 v4, v16, 12, v6
	s_delay_alu instid0(VALU_DEP_4) | instskip(SKIP_4) | instid1(VALU_DEP_3)
	v_or_b32_e32 v14, v19, v17
	s_wait_alu 0xfffd
	v_cndmask_b32_e64 v18, 0, 1, vcc_lo
	v_cmp_gt_i32_e32 vcc_lo, 1, v16
	v_lshl_or_b32 v17, v15, 12, v10
	v_or_b32_e32 v18, v20, v18
	s_wait_alu 0xfffd
	v_cndmask_b32_e32 v4, v4, v14, vcc_lo
	v_cmp_gt_i32_e32 vcc_lo, 1, v15
	s_wait_alu 0xfffd
	v_cndmask_b32_e32 v14, v17, v18, vcc_lo
	v_cmp_ne_u32_e32 vcc_lo, 0, v6
	v_and_b32_e32 v17, 7, v4
	v_lshrrev_b32_e32 v4, 2, v4
	s_delay_alu instid0(VALU_DEP_4)
	v_and_b32_e32 v18, 7, v14
	s_wait_alu 0xfffd
	v_cndmask_b32_e64 v6, 0, 1, vcc_lo
	v_cmp_ne_u32_e32 vcc_lo, 0, v10
	v_cmp_eq_u32_e64 s0, 3, v17
	v_lshrrev_b32_e32 v14, 2, v14
	v_cmp_lt_i32_e64 s1, 5, v18
	v_cmp_eq_u32_e64 s2, 3, v18
	s_wait_alu 0xfffd
	v_cndmask_b32_e64 v10, 0, 1, vcc_lo
	v_cmp_lt_i32_e32 vcc_lo, 5, v17
	v_lshl_or_b32 v6, v6, 9, 0x7c00
	s_delay_alu instid0(VALU_DEP_3)
	v_lshl_or_b32 v10, v10, 9, 0x7c00
	s_or_b32 vcc_lo, s0, vcc_lo
	s_wait_alu 0xfffe
	v_add_co_ci_u32_e32 v4, vcc_lo, 0, v4, vcc_lo
	s_or_b32 vcc_lo, s2, s1
	s_wait_alu 0xfffe
	v_add_co_ci_u32_e32 v14, vcc_lo, 0, v14, vcc_lo
	v_cmp_gt_i32_e32 vcc_lo, 31, v16
	s_wait_alu 0xfffd
	v_cndmask_b32_e32 v4, 0x7c00, v4, vcc_lo
	v_cmp_gt_i32_e32 vcc_lo, 31, v15
	s_wait_alu 0xfffd
	v_cndmask_b32_e32 v14, 0x7c00, v14, vcc_lo
	v_cmp_eq_u32_e32 vcc_lo, 0x40f, v16
	s_wait_alu 0xfffd
	v_cndmask_b32_e32 v4, v4, v6, vcc_lo
	v_cmp_eq_u32_e32 vcc_lo, 0x40f, v15
	s_delay_alu instid0(VALU_DEP_2) | instskip(SKIP_3) | instid1(VALU_DEP_3)
	v_and_or_b32 v4, 0x8000, v7, v4
	s_wait_alu 0xfffd
	v_cndmask_b32_e32 v10, v14, v10, vcc_lo
	v_lshlrev_b64_e32 v[6:7], 2, v[12:13]
	v_and_b32_e32 v4, 0xffff, v4
	s_delay_alu instid0(VALU_DEP_3) | instskip(NEXT) | instid1(VALU_DEP_3)
	v_and_or_b32 v10, 0x8000, v11, v10
	v_add_co_u32 v6, vcc_lo, v2, v6
	s_wait_alu 0xfffd
	s_delay_alu instid0(VALU_DEP_4) | instskip(NEXT) | instid1(VALU_DEP_3)
	v_add_co_ci_u32_e32 v7, vcc_lo, v3, v7, vcc_lo
	v_lshl_or_b32 v4, v10, 16, v4
	global_store_b32 v[6:7], v4, off
	global_load_b32 v4, v[8:9], off offset:532
	v_lshrrev_b32_e32 v6, 16, v5
	s_wait_loadcnt 0x0
	v_lshrrev_b32_e32 v7, 16, v4
	s_delay_alu instid0(VALU_DEP_1) | instskip(SKIP_1) | instid1(VALU_DEP_2)
	v_mul_f16_e32 v10, v6, v7
	v_mul_f16_e32 v7, v5, v7
	v_fmac_f16_e32 v10, v5, v4
	s_delay_alu instid0(VALU_DEP_2) | instskip(NEXT) | instid1(VALU_DEP_2)
	v_fma_f16 v4, v4, v6, -v7
	v_cvt_f32_f16_e32 v5, v10
	s_delay_alu instid0(VALU_DEP_2) | instskip(NEXT) | instid1(VALU_DEP_2)
	v_cvt_f32_f16_e32 v6, v4
	v_cvt_f64_f32_e32 v[4:5], v5
	s_delay_alu instid0(VALU_DEP_2) | instskip(NEXT) | instid1(VALU_DEP_2)
	v_cvt_f64_f32_e32 v[6:7], v6
	v_mul_f64_e32 v[4:5], s[8:9], v[4:5]
	s_delay_alu instid0(VALU_DEP_2) | instskip(NEXT) | instid1(VALU_DEP_2)
	v_mul_f64_e32 v[6:7], s[8:9], v[6:7]
	v_and_or_b32 v4, 0x1ff, v5, v4
	s_delay_alu instid0(VALU_DEP_2)
	v_and_or_b32 v6, 0x1ff, v7, v6
	v_lshrrev_b32_e32 v10, 8, v5
	v_bfe_u32 v11, v5, 20, 11
	v_lshrrev_b32_e32 v12, 8, v7
	v_cmp_ne_u32_e32 vcc_lo, 0, v4
	v_bfe_u32 v13, v7, 20, 11
	v_lshrrev_b32_e32 v5, 16, v5
	v_sub_nc_u32_e32 v14, 0x3f1, v11
	v_add_nc_u32_e32 v11, 0xfffffc10, v11
	s_wait_alu 0xfffd
	v_cndmask_b32_e64 v4, 0, 1, vcc_lo
	v_cmp_ne_u32_e32 vcc_lo, 0, v6
	v_lshrrev_b32_e32 v7, 16, v7
	s_delay_alu instid0(VALU_DEP_3) | instskip(SKIP_4) | instid1(VALU_DEP_3)
	v_and_or_b32 v4, 0xffe, v10, v4
	s_wait_alu 0xfffd
	v_cndmask_b32_e64 v6, 0, 1, vcc_lo
	v_sub_nc_u32_e32 v10, 0x3f1, v13
	v_add_nc_u32_e32 v13, 0xfffffc10, v13
	v_and_or_b32 v6, 0xffe, v12, v6
	v_med3_i32 v12, v14, 0, 13
	v_or_b32_e32 v14, 0x1000, v4
	v_med3_i32 v10, v10, 0, 13
	s_delay_alu instid0(VALU_DEP_4) | instskip(NEXT) | instid1(VALU_DEP_3)
	v_or_b32_e32 v15, 0x1000, v6
	v_lshrrev_b32_e32 v16, v12, v14
	s_delay_alu instid0(VALU_DEP_2) | instskip(NEXT) | instid1(VALU_DEP_2)
	v_lshrrev_b32_e32 v17, v10, v15
	v_lshlrev_b32_e32 v12, v12, v16
	s_delay_alu instid0(VALU_DEP_2) | instskip(NEXT) | instid1(VALU_DEP_2)
	v_lshlrev_b32_e32 v10, v10, v17
	v_cmp_ne_u32_e32 vcc_lo, v12, v14
	v_lshl_or_b32 v14, v11, 12, v4
	s_wait_alu 0xfffd
	v_cndmask_b32_e64 v12, 0, 1, vcc_lo
	v_cmp_ne_u32_e32 vcc_lo, v10, v15
	v_lshl_or_b32 v15, v13, 12, v6
	s_delay_alu instid0(VALU_DEP_3) | instskip(SKIP_3) | instid1(VALU_DEP_2)
	v_or_b32_e32 v12, v16, v12
	s_wait_alu 0xfffd
	v_cndmask_b32_e64 v10, 0, 1, vcc_lo
	v_cmp_gt_i32_e32 vcc_lo, 1, v11
	v_or_b32_e32 v10, v17, v10
	s_wait_alu 0xfffd
	v_cndmask_b32_e32 v12, v14, v12, vcc_lo
	v_cmp_gt_i32_e32 vcc_lo, 1, v13
	s_delay_alu instid0(VALU_DEP_2)
	v_and_b32_e32 v14, 7, v12
	s_wait_alu 0xfffd
	v_cndmask_b32_e32 v10, v15, v10, vcc_lo
	v_cmp_ne_u32_e32 vcc_lo, 0, v4
	v_lshrrev_b32_e32 v12, 2, v12
	v_cmp_eq_u32_e64 s0, 3, v14
	s_delay_alu instid0(VALU_DEP_4)
	v_and_b32_e32 v15, 7, v10
	s_wait_alu 0xfffd
	v_cndmask_b32_e64 v4, 0, 1, vcc_lo
	v_cmp_ne_u32_e32 vcc_lo, 0, v6
	v_lshrrev_b32_e32 v10, 2, v10
	v_cmp_lt_i32_e64 s1, 5, v15
	v_cmp_eq_u32_e64 s2, 3, v15
	s_wait_alu 0xfffd
	v_cndmask_b32_e64 v6, 0, 1, vcc_lo
	v_cmp_lt_i32_e32 vcc_lo, 5, v14
	v_lshl_or_b32 v4, v4, 9, 0x7c00
	s_delay_alu instid0(VALU_DEP_3)
	v_lshl_or_b32 v6, v6, 9, 0x7c00
	s_or_b32 vcc_lo, s0, vcc_lo
	s_wait_alu 0xfffe
	v_add_co_ci_u32_e32 v12, vcc_lo, 0, v12, vcc_lo
	s_or_b32 vcc_lo, s2, s1
	s_wait_alu 0xfffe
	v_add_co_ci_u32_e32 v10, vcc_lo, 0, v10, vcc_lo
	v_cmp_gt_i32_e32 vcc_lo, 31, v11
	s_wait_alu 0xfffd
	v_cndmask_b32_e32 v12, 0x7c00, v12, vcc_lo
	v_cmp_gt_i32_e32 vcc_lo, 31, v13
	s_wait_alu 0xfffd
	v_cndmask_b32_e32 v10, 0x7c00, v10, vcc_lo
	v_cmp_eq_u32_e32 vcc_lo, 0x40f, v11
	s_wait_alu 0xfffd
	v_cndmask_b32_e32 v4, v12, v4, vcc_lo
	v_cmp_eq_u32_e32 vcc_lo, 0x40f, v13
	s_delay_alu instid0(VALU_DEP_2)
	v_and_or_b32 v4, 0x8000, v5, v4
	s_wait_alu 0xfffd
	v_cndmask_b32_e32 v6, v10, v6, vcc_lo
	v_add_co_u32 v0, vcc_lo, v0, s6
	s_wait_alu 0xfffd
	v_add_co_ci_u32_e32 v1, vcc_lo, s7, v1, vcc_lo
	s_delay_alu instid0(VALU_DEP_3) | instskip(SKIP_1) | instid1(VALU_DEP_1)
	v_and_or_b32 v5, 0x8000, v7, v6
	v_and_b32_e32 v4, 0xffff, v4
	v_lshl_or_b32 v4, v5, 16, v4
	global_store_b32 v[0:1], v4, off
	global_load_b32 v6, v[8:9], off offset:592
	ds_load_2addr_b32 v[4:5], v46 offset0:148 offset1:163
	s_wait_dscnt 0x0
	v_lshrrev_b32_e32 v7, 16, v4
	s_wait_loadcnt 0x0
	v_lshrrev_b32_e32 v10, 16, v6
	s_delay_alu instid0(VALU_DEP_1) | instskip(SKIP_1) | instid1(VALU_DEP_2)
	v_mul_f16_e32 v11, v7, v10
	v_mul_f16_e32 v10, v4, v10
	v_fmac_f16_e32 v11, v4, v6
	s_delay_alu instid0(VALU_DEP_2) | instskip(NEXT) | instid1(VALU_DEP_2)
	v_fma_f16 v4, v6, v7, -v10
	v_cvt_f32_f16_e32 v6, v11
	s_delay_alu instid0(VALU_DEP_2) | instskip(NEXT) | instid1(VALU_DEP_2)
	v_cvt_f32_f16_e32 v4, v4
	v_cvt_f64_f32_e32 v[6:7], v6
	s_delay_alu instid0(VALU_DEP_2) | instskip(NEXT) | instid1(VALU_DEP_2)
	v_cvt_f64_f32_e32 v[10:11], v4
	v_mul_f64_e32 v[6:7], s[8:9], v[6:7]
	s_delay_alu instid0(VALU_DEP_2) | instskip(NEXT) | instid1(VALU_DEP_2)
	v_mul_f64_e32 v[10:11], s[8:9], v[10:11]
	v_and_or_b32 v4, 0x1ff, v7, v6
	s_delay_alu instid0(VALU_DEP_2)
	v_and_or_b32 v10, 0x1ff, v11, v10
	v_lshrrev_b32_e32 v6, 8, v7
	v_bfe_u32 v14, v7, 20, 11
	v_lshrrev_b32_e32 v12, 8, v11
	v_cmp_ne_u32_e32 vcc_lo, 0, v4
	v_bfe_u32 v15, v11, 20, 11
	v_lshrrev_b32_e32 v7, 16, v7
	v_sub_nc_u32_e32 v13, 0x3f1, v14
	v_lshrrev_b32_e32 v11, 16, v11
	s_wait_alu 0xfffd
	v_cndmask_b32_e64 v4, 0, 1, vcc_lo
	v_cmp_ne_u32_e32 vcc_lo, 0, v10
	v_sub_nc_u32_e32 v16, 0x3f1, v15
	v_add_nc_u32_e32 v15, 0xfffffc10, v15
	s_delay_alu instid0(VALU_DEP_4)
	v_and_or_b32 v6, 0xffe, v6, v4
	s_wait_alu 0xfffd
	v_cndmask_b32_e64 v10, 0, 1, vcc_lo
	v_med3_i32 v4, v13, 0, 13
	v_med3_i32 v16, v16, 0, 13
	v_or_b32_e32 v17, 0x1000, v6
	s_delay_alu instid0(VALU_DEP_4) | instskip(SKIP_1) | instid1(VALU_DEP_3)
	v_and_or_b32 v10, 0xffe, v12, v10
	v_mad_co_u64_u32 v[12:13], null, s4, v47, 0
	v_lshrrev_b32_e32 v19, v4, v17
	s_delay_alu instid0(VALU_DEP_3) | instskip(NEXT) | instid1(VALU_DEP_2)
	v_or_b32_e32 v18, 0x1000, v10
	v_lshlrev_b32_e32 v21, v4, v19
	s_delay_alu instid0(VALU_DEP_2) | instskip(SKIP_1) | instid1(VALU_DEP_3)
	v_lshrrev_b32_e32 v20, v16, v18
	v_mov_b32_e32 v4, v13
	v_cmp_ne_u32_e32 vcc_lo, v21, v17
	s_delay_alu instid0(VALU_DEP_3) | instskip(SKIP_3) | instid1(VALU_DEP_3)
	v_lshlrev_b32_e32 v13, v16, v20
	v_add_nc_u32_e32 v16, 0xfffffc10, v14
	s_wait_alu 0xfffd
	v_cndmask_b32_e64 v17, 0, 1, vcc_lo
	v_cmp_ne_u32_e32 vcc_lo, v13, v18
	v_mad_co_u64_u32 v[13:14], null, s5, v47, v[4:5]
	v_lshl_or_b32 v4, v16, 12, v6
	s_delay_alu instid0(VALU_DEP_4) | instskip(SKIP_4) | instid1(VALU_DEP_3)
	v_or_b32_e32 v14, v19, v17
	s_wait_alu 0xfffd
	v_cndmask_b32_e64 v18, 0, 1, vcc_lo
	v_cmp_gt_i32_e32 vcc_lo, 1, v16
	v_lshl_or_b32 v17, v15, 12, v10
	v_or_b32_e32 v18, v20, v18
	s_wait_alu 0xfffd
	v_cndmask_b32_e32 v4, v4, v14, vcc_lo
	v_cmp_gt_i32_e32 vcc_lo, 1, v15
	s_wait_alu 0xfffd
	v_cndmask_b32_e32 v14, v17, v18, vcc_lo
	v_cmp_ne_u32_e32 vcc_lo, 0, v6
	v_and_b32_e32 v17, 7, v4
	v_lshrrev_b32_e32 v4, 2, v4
	s_delay_alu instid0(VALU_DEP_4)
	v_and_b32_e32 v18, 7, v14
	s_wait_alu 0xfffd
	v_cndmask_b32_e64 v6, 0, 1, vcc_lo
	v_cmp_ne_u32_e32 vcc_lo, 0, v10
	v_cmp_eq_u32_e64 s0, 3, v17
	v_lshrrev_b32_e32 v14, 2, v14
	v_cmp_lt_i32_e64 s1, 5, v18
	v_cmp_eq_u32_e64 s2, 3, v18
	s_wait_alu 0xfffd
	v_cndmask_b32_e64 v10, 0, 1, vcc_lo
	v_cmp_lt_i32_e32 vcc_lo, 5, v17
	v_lshl_or_b32 v6, v6, 9, 0x7c00
	s_delay_alu instid0(VALU_DEP_3)
	v_lshl_or_b32 v10, v10, 9, 0x7c00
	s_or_b32 vcc_lo, s0, vcc_lo
	s_wait_alu 0xfffe
	v_add_co_ci_u32_e32 v4, vcc_lo, 0, v4, vcc_lo
	s_or_b32 vcc_lo, s2, s1
	s_wait_alu 0xfffe
	v_add_co_ci_u32_e32 v14, vcc_lo, 0, v14, vcc_lo
	v_cmp_gt_i32_e32 vcc_lo, 31, v16
	s_wait_alu 0xfffd
	v_cndmask_b32_e32 v4, 0x7c00, v4, vcc_lo
	v_cmp_gt_i32_e32 vcc_lo, 31, v15
	s_wait_alu 0xfffd
	v_cndmask_b32_e32 v14, 0x7c00, v14, vcc_lo
	v_cmp_eq_u32_e32 vcc_lo, 0x40f, v16
	s_wait_alu 0xfffd
	v_cndmask_b32_e32 v4, v4, v6, vcc_lo
	v_cmp_eq_u32_e32 vcc_lo, 0x40f, v15
	s_delay_alu instid0(VALU_DEP_2) | instskip(SKIP_3) | instid1(VALU_DEP_3)
	v_and_or_b32 v4, 0x8000, v7, v4
	s_wait_alu 0xfffd
	v_cndmask_b32_e32 v10, v14, v10, vcc_lo
	v_lshlrev_b64_e32 v[6:7], 2, v[12:13]
	v_and_b32_e32 v4, 0xffff, v4
	s_delay_alu instid0(VALU_DEP_3) | instskip(NEXT) | instid1(VALU_DEP_3)
	v_and_or_b32 v10, 0x8000, v11, v10
	v_add_co_u32 v6, vcc_lo, v2, v6
	s_wait_alu 0xfffd
	s_delay_alu instid0(VALU_DEP_4) | instskip(NEXT) | instid1(VALU_DEP_3)
	v_add_co_ci_u32_e32 v7, vcc_lo, v3, v7, vcc_lo
	v_lshl_or_b32 v4, v10, 16, v4
	global_store_b32 v[6:7], v4, off
	global_load_b32 v4, v[8:9], off offset:652
	v_lshrrev_b32_e32 v6, 16, v5
	s_wait_loadcnt 0x0
	v_lshrrev_b32_e32 v7, 16, v4
	s_delay_alu instid0(VALU_DEP_1) | instskip(SKIP_1) | instid1(VALU_DEP_2)
	v_mul_f16_e32 v10, v6, v7
	v_mul_f16_e32 v7, v5, v7
	v_fmac_f16_e32 v10, v5, v4
	s_delay_alu instid0(VALU_DEP_2) | instskip(NEXT) | instid1(VALU_DEP_2)
	v_fma_f16 v4, v4, v6, -v7
	v_cvt_f32_f16_e32 v5, v10
	s_delay_alu instid0(VALU_DEP_2) | instskip(NEXT) | instid1(VALU_DEP_2)
	v_cvt_f32_f16_e32 v6, v4
	v_cvt_f64_f32_e32 v[4:5], v5
	s_delay_alu instid0(VALU_DEP_2) | instskip(NEXT) | instid1(VALU_DEP_2)
	v_cvt_f64_f32_e32 v[6:7], v6
	v_mul_f64_e32 v[4:5], s[8:9], v[4:5]
	s_delay_alu instid0(VALU_DEP_2) | instskip(NEXT) | instid1(VALU_DEP_2)
	v_mul_f64_e32 v[6:7], s[8:9], v[6:7]
	v_and_or_b32 v4, 0x1ff, v5, v4
	s_delay_alu instid0(VALU_DEP_2)
	v_and_or_b32 v6, 0x1ff, v7, v6
	v_lshrrev_b32_e32 v10, 8, v5
	v_bfe_u32 v11, v5, 20, 11
	v_lshrrev_b32_e32 v12, 8, v7
	v_cmp_ne_u32_e32 vcc_lo, 0, v4
	v_bfe_u32 v13, v7, 20, 11
	v_lshrrev_b32_e32 v5, 16, v5
	v_sub_nc_u32_e32 v14, 0x3f1, v11
	v_add_nc_u32_e32 v11, 0xfffffc10, v11
	s_wait_alu 0xfffd
	v_cndmask_b32_e64 v4, 0, 1, vcc_lo
	v_cmp_ne_u32_e32 vcc_lo, 0, v6
	v_lshrrev_b32_e32 v7, 16, v7
	s_delay_alu instid0(VALU_DEP_3) | instskip(SKIP_4) | instid1(VALU_DEP_3)
	v_and_or_b32 v4, 0xffe, v10, v4
	s_wait_alu 0xfffd
	v_cndmask_b32_e64 v6, 0, 1, vcc_lo
	v_sub_nc_u32_e32 v10, 0x3f1, v13
	v_add_nc_u32_e32 v13, 0xfffffc10, v13
	v_and_or_b32 v6, 0xffe, v12, v6
	v_med3_i32 v12, v14, 0, 13
	v_or_b32_e32 v14, 0x1000, v4
	v_med3_i32 v10, v10, 0, 13
	s_delay_alu instid0(VALU_DEP_4) | instskip(NEXT) | instid1(VALU_DEP_3)
	v_or_b32_e32 v15, 0x1000, v6
	v_lshrrev_b32_e32 v16, v12, v14
	s_delay_alu instid0(VALU_DEP_2) | instskip(NEXT) | instid1(VALU_DEP_2)
	v_lshrrev_b32_e32 v17, v10, v15
	v_lshlrev_b32_e32 v12, v12, v16
	s_delay_alu instid0(VALU_DEP_2) | instskip(NEXT) | instid1(VALU_DEP_2)
	v_lshlrev_b32_e32 v10, v10, v17
	v_cmp_ne_u32_e32 vcc_lo, v12, v14
	v_lshl_or_b32 v14, v11, 12, v4
	s_wait_alu 0xfffd
	v_cndmask_b32_e64 v12, 0, 1, vcc_lo
	v_cmp_ne_u32_e32 vcc_lo, v10, v15
	v_lshl_or_b32 v15, v13, 12, v6
	s_delay_alu instid0(VALU_DEP_3) | instskip(SKIP_3) | instid1(VALU_DEP_2)
	v_or_b32_e32 v12, v16, v12
	s_wait_alu 0xfffd
	v_cndmask_b32_e64 v10, 0, 1, vcc_lo
	v_cmp_gt_i32_e32 vcc_lo, 1, v11
	v_or_b32_e32 v10, v17, v10
	s_wait_alu 0xfffd
	v_cndmask_b32_e32 v12, v14, v12, vcc_lo
	v_cmp_gt_i32_e32 vcc_lo, 1, v13
	s_delay_alu instid0(VALU_DEP_2)
	v_and_b32_e32 v14, 7, v12
	s_wait_alu 0xfffd
	v_cndmask_b32_e32 v10, v15, v10, vcc_lo
	v_cmp_ne_u32_e32 vcc_lo, 0, v4
	v_lshrrev_b32_e32 v12, 2, v12
	v_cmp_eq_u32_e64 s0, 3, v14
	s_delay_alu instid0(VALU_DEP_4)
	v_and_b32_e32 v15, 7, v10
	s_wait_alu 0xfffd
	v_cndmask_b32_e64 v4, 0, 1, vcc_lo
	v_cmp_ne_u32_e32 vcc_lo, 0, v6
	v_lshrrev_b32_e32 v10, 2, v10
	v_cmp_lt_i32_e64 s1, 5, v15
	v_cmp_eq_u32_e64 s2, 3, v15
	s_wait_alu 0xfffd
	v_cndmask_b32_e64 v6, 0, 1, vcc_lo
	v_cmp_lt_i32_e32 vcc_lo, 5, v14
	v_lshl_or_b32 v4, v4, 9, 0x7c00
	s_delay_alu instid0(VALU_DEP_3)
	v_lshl_or_b32 v6, v6, 9, 0x7c00
	s_or_b32 vcc_lo, s0, vcc_lo
	s_wait_alu 0xfffe
	v_add_co_ci_u32_e32 v12, vcc_lo, 0, v12, vcc_lo
	s_or_b32 vcc_lo, s2, s1
	s_wait_alu 0xfffe
	v_add_co_ci_u32_e32 v10, vcc_lo, 0, v10, vcc_lo
	v_cmp_gt_i32_e32 vcc_lo, 31, v11
	s_wait_alu 0xfffd
	v_cndmask_b32_e32 v12, 0x7c00, v12, vcc_lo
	v_cmp_gt_i32_e32 vcc_lo, 31, v13
	s_wait_alu 0xfffd
	v_cndmask_b32_e32 v10, 0x7c00, v10, vcc_lo
	v_cmp_eq_u32_e32 vcc_lo, 0x40f, v11
	s_wait_alu 0xfffd
	v_cndmask_b32_e32 v4, v12, v4, vcc_lo
	v_cmp_eq_u32_e32 vcc_lo, 0x40f, v13
	s_delay_alu instid0(VALU_DEP_2)
	v_and_or_b32 v4, 0x8000, v5, v4
	s_wait_alu 0xfffd
	v_cndmask_b32_e32 v6, v10, v6, vcc_lo
	v_add_co_u32 v0, vcc_lo, v0, s6
	s_wait_alu 0xfffd
	v_add_co_ci_u32_e32 v1, vcc_lo, s7, v1, vcc_lo
	s_delay_alu instid0(VALU_DEP_3) | instskip(SKIP_1) | instid1(VALU_DEP_1)
	v_and_or_b32 v5, 0x8000, v7, v6
	v_and_b32_e32 v4, 0xffff, v4
	v_lshl_or_b32 v4, v5, 16, v4
	global_store_b32 v[0:1], v4, off
	global_load_b32 v6, v[8:9], off offset:712
	ds_load_2addr_b32 v[4:5], v46 offset0:178 offset1:193
	s_wait_dscnt 0x0
	v_lshrrev_b32_e32 v7, 16, v4
	s_wait_loadcnt 0x0
	v_lshrrev_b32_e32 v10, 16, v6
	s_delay_alu instid0(VALU_DEP_1) | instskip(SKIP_1) | instid1(VALU_DEP_2)
	v_mul_f16_e32 v11, v7, v10
	v_mul_f16_e32 v10, v4, v10
	v_fmac_f16_e32 v11, v4, v6
	s_delay_alu instid0(VALU_DEP_2) | instskip(NEXT) | instid1(VALU_DEP_2)
	v_fma_f16 v4, v6, v7, -v10
	v_cvt_f32_f16_e32 v6, v11
	s_delay_alu instid0(VALU_DEP_2) | instskip(NEXT) | instid1(VALU_DEP_2)
	v_cvt_f32_f16_e32 v4, v4
	v_cvt_f64_f32_e32 v[6:7], v6
	s_delay_alu instid0(VALU_DEP_2) | instskip(NEXT) | instid1(VALU_DEP_2)
	v_cvt_f64_f32_e32 v[10:11], v4
	v_mul_f64_e32 v[6:7], s[8:9], v[6:7]
	s_delay_alu instid0(VALU_DEP_2) | instskip(NEXT) | instid1(VALU_DEP_2)
	v_mul_f64_e32 v[10:11], s[8:9], v[10:11]
	v_and_or_b32 v4, 0x1ff, v7, v6
	s_delay_alu instid0(VALU_DEP_2)
	v_and_or_b32 v10, 0x1ff, v11, v10
	v_lshrrev_b32_e32 v6, 8, v7
	v_bfe_u32 v14, v7, 20, 11
	v_lshrrev_b32_e32 v12, 8, v11
	v_cmp_ne_u32_e32 vcc_lo, 0, v4
	v_bfe_u32 v15, v11, 20, 11
	v_lshrrev_b32_e32 v7, 16, v7
	v_sub_nc_u32_e32 v13, 0x3f1, v14
	v_lshrrev_b32_e32 v11, 16, v11
	s_wait_alu 0xfffd
	v_cndmask_b32_e64 v4, 0, 1, vcc_lo
	v_cmp_ne_u32_e32 vcc_lo, 0, v10
	v_sub_nc_u32_e32 v16, 0x3f1, v15
	v_add_nc_u32_e32 v15, 0xfffffc10, v15
	s_delay_alu instid0(VALU_DEP_4)
	v_and_or_b32 v6, 0xffe, v6, v4
	s_wait_alu 0xfffd
	v_cndmask_b32_e64 v10, 0, 1, vcc_lo
	v_med3_i32 v4, v13, 0, 13
	v_med3_i32 v16, v16, 0, 13
	v_or_b32_e32 v17, 0x1000, v6
	s_delay_alu instid0(VALU_DEP_4) | instskip(SKIP_1) | instid1(VALU_DEP_3)
	v_and_or_b32 v10, 0xffe, v12, v10
	v_mad_co_u64_u32 v[12:13], null, s4, v45, 0
	v_lshrrev_b32_e32 v19, v4, v17
	s_delay_alu instid0(VALU_DEP_3) | instskip(NEXT) | instid1(VALU_DEP_2)
	v_or_b32_e32 v18, 0x1000, v10
	v_lshlrev_b32_e32 v21, v4, v19
	s_delay_alu instid0(VALU_DEP_2) | instskip(SKIP_1) | instid1(VALU_DEP_3)
	v_lshrrev_b32_e32 v20, v16, v18
	v_mov_b32_e32 v4, v13
	v_cmp_ne_u32_e32 vcc_lo, v21, v17
	s_delay_alu instid0(VALU_DEP_3) | instskip(SKIP_3) | instid1(VALU_DEP_3)
	v_lshlrev_b32_e32 v13, v16, v20
	v_add_nc_u32_e32 v16, 0xfffffc10, v14
	s_wait_alu 0xfffd
	v_cndmask_b32_e64 v17, 0, 1, vcc_lo
	v_cmp_ne_u32_e32 vcc_lo, v13, v18
	v_mad_co_u64_u32 v[13:14], null, s5, v45, v[4:5]
	v_lshl_or_b32 v4, v16, 12, v6
	s_delay_alu instid0(VALU_DEP_4) | instskip(SKIP_4) | instid1(VALU_DEP_3)
	v_or_b32_e32 v14, v19, v17
	s_wait_alu 0xfffd
	v_cndmask_b32_e64 v18, 0, 1, vcc_lo
	v_cmp_gt_i32_e32 vcc_lo, 1, v16
	v_lshl_or_b32 v17, v15, 12, v10
	v_or_b32_e32 v18, v20, v18
	s_wait_alu 0xfffd
	v_cndmask_b32_e32 v4, v4, v14, vcc_lo
	v_cmp_gt_i32_e32 vcc_lo, 1, v15
	s_wait_alu 0xfffd
	v_cndmask_b32_e32 v14, v17, v18, vcc_lo
	v_cmp_ne_u32_e32 vcc_lo, 0, v6
	v_and_b32_e32 v17, 7, v4
	v_lshrrev_b32_e32 v4, 2, v4
	s_delay_alu instid0(VALU_DEP_4)
	v_and_b32_e32 v18, 7, v14
	s_wait_alu 0xfffd
	v_cndmask_b32_e64 v6, 0, 1, vcc_lo
	v_cmp_ne_u32_e32 vcc_lo, 0, v10
	v_cmp_eq_u32_e64 s0, 3, v17
	v_lshrrev_b32_e32 v14, 2, v14
	v_cmp_lt_i32_e64 s1, 5, v18
	v_cmp_eq_u32_e64 s2, 3, v18
	s_wait_alu 0xfffd
	v_cndmask_b32_e64 v10, 0, 1, vcc_lo
	v_cmp_lt_i32_e32 vcc_lo, 5, v17
	v_lshl_or_b32 v6, v6, 9, 0x7c00
	s_delay_alu instid0(VALU_DEP_3)
	v_lshl_or_b32 v10, v10, 9, 0x7c00
	s_or_b32 vcc_lo, s0, vcc_lo
	s_wait_alu 0xfffe
	v_add_co_ci_u32_e32 v4, vcc_lo, 0, v4, vcc_lo
	s_or_b32 vcc_lo, s2, s1
	s_wait_alu 0xfffe
	v_add_co_ci_u32_e32 v14, vcc_lo, 0, v14, vcc_lo
	v_cmp_gt_i32_e32 vcc_lo, 31, v16
	s_wait_alu 0xfffd
	v_cndmask_b32_e32 v4, 0x7c00, v4, vcc_lo
	v_cmp_gt_i32_e32 vcc_lo, 31, v15
	s_wait_alu 0xfffd
	v_cndmask_b32_e32 v14, 0x7c00, v14, vcc_lo
	v_cmp_eq_u32_e32 vcc_lo, 0x40f, v16
	s_wait_alu 0xfffd
	v_cndmask_b32_e32 v4, v4, v6, vcc_lo
	v_cmp_eq_u32_e32 vcc_lo, 0x40f, v15
	s_delay_alu instid0(VALU_DEP_2) | instskip(SKIP_3) | instid1(VALU_DEP_3)
	v_and_or_b32 v4, 0x8000, v7, v4
	s_wait_alu 0xfffd
	v_cndmask_b32_e32 v10, v14, v10, vcc_lo
	v_lshlrev_b64_e32 v[6:7], 2, v[12:13]
	v_and_b32_e32 v4, 0xffff, v4
	s_delay_alu instid0(VALU_DEP_3) | instskip(NEXT) | instid1(VALU_DEP_3)
	v_and_or_b32 v10, 0x8000, v11, v10
	v_add_co_u32 v2, vcc_lo, v2, v6
	s_wait_alu 0xfffd
	s_delay_alu instid0(VALU_DEP_4) | instskip(NEXT) | instid1(VALU_DEP_3)
	v_add_co_ci_u32_e32 v3, vcc_lo, v3, v7, vcc_lo
	v_lshl_or_b32 v4, v10, 16, v4
	global_store_b32 v[2:3], v4, off
	global_load_b32 v2, v[8:9], off offset:772
	v_lshrrev_b32_e32 v3, 16, v5
	s_wait_loadcnt 0x0
	v_lshrrev_b32_e32 v4, 16, v2
	s_delay_alu instid0(VALU_DEP_1) | instskip(SKIP_1) | instid1(VALU_DEP_2)
	v_mul_f16_e32 v6, v3, v4
	v_mul_f16_e32 v4, v5, v4
	v_fmac_f16_e32 v6, v5, v2
	s_delay_alu instid0(VALU_DEP_2) | instskip(NEXT) | instid1(VALU_DEP_2)
	v_fma_f16 v2, v2, v3, -v4
	v_cvt_f32_f16_e32 v3, v6
	s_delay_alu instid0(VALU_DEP_2) | instskip(NEXT) | instid1(VALU_DEP_2)
	v_cvt_f32_f16_e32 v4, v2
	v_cvt_f64_f32_e32 v[2:3], v3
	s_delay_alu instid0(VALU_DEP_2) | instskip(NEXT) | instid1(VALU_DEP_2)
	v_cvt_f64_f32_e32 v[4:5], v4
	v_mul_f64_e32 v[2:3], s[8:9], v[2:3]
	s_delay_alu instid0(VALU_DEP_2) | instskip(NEXT) | instid1(VALU_DEP_2)
	v_mul_f64_e32 v[4:5], s[8:9], v[4:5]
	v_and_or_b32 v2, 0x1ff, v3, v2
	s_delay_alu instid0(VALU_DEP_2)
	v_and_or_b32 v4, 0x1ff, v5, v4
	v_lshrrev_b32_e32 v6, 8, v3
	v_bfe_u32 v7, v3, 20, 11
	v_lshrrev_b32_e32 v8, 8, v5
	v_cmp_ne_u32_e32 vcc_lo, 0, v2
	v_bfe_u32 v9, v5, 20, 11
	v_lshrrev_b32_e32 v3, 16, v3
	v_sub_nc_u32_e32 v10, 0x3f1, v7
	v_add_nc_u32_e32 v7, 0xfffffc10, v7
	s_wait_alu 0xfffd
	v_cndmask_b32_e64 v2, 0, 1, vcc_lo
	v_cmp_ne_u32_e32 vcc_lo, 0, v4
	v_lshrrev_b32_e32 v5, 16, v5
	s_delay_alu instid0(VALU_DEP_3) | instskip(SKIP_4) | instid1(VALU_DEP_3)
	v_and_or_b32 v2, 0xffe, v6, v2
	s_wait_alu 0xfffd
	v_cndmask_b32_e64 v4, 0, 1, vcc_lo
	v_sub_nc_u32_e32 v6, 0x3f1, v9
	v_add_nc_u32_e32 v9, 0xfffffc10, v9
	v_and_or_b32 v4, 0xffe, v8, v4
	v_med3_i32 v8, v10, 0, 13
	v_or_b32_e32 v10, 0x1000, v2
	v_med3_i32 v6, v6, 0, 13
	s_delay_alu instid0(VALU_DEP_4) | instskip(NEXT) | instid1(VALU_DEP_3)
	v_or_b32_e32 v11, 0x1000, v4
	v_lshrrev_b32_e32 v12, v8, v10
	s_delay_alu instid0(VALU_DEP_2) | instskip(NEXT) | instid1(VALU_DEP_2)
	v_lshrrev_b32_e32 v13, v6, v11
	v_lshlrev_b32_e32 v8, v8, v12
	s_delay_alu instid0(VALU_DEP_2) | instskip(NEXT) | instid1(VALU_DEP_2)
	v_lshlrev_b32_e32 v6, v6, v13
	v_cmp_ne_u32_e32 vcc_lo, v8, v10
	v_lshl_or_b32 v10, v7, 12, v2
	s_wait_alu 0xfffd
	v_cndmask_b32_e64 v8, 0, 1, vcc_lo
	v_cmp_ne_u32_e32 vcc_lo, v6, v11
	v_lshl_or_b32 v11, v9, 12, v4
	s_delay_alu instid0(VALU_DEP_3) | instskip(SKIP_3) | instid1(VALU_DEP_2)
	v_or_b32_e32 v8, v12, v8
	s_wait_alu 0xfffd
	v_cndmask_b32_e64 v6, 0, 1, vcc_lo
	v_cmp_gt_i32_e32 vcc_lo, 1, v7
	v_or_b32_e32 v6, v13, v6
	s_wait_alu 0xfffd
	v_cndmask_b32_e32 v8, v10, v8, vcc_lo
	v_cmp_gt_i32_e32 vcc_lo, 1, v9
	s_delay_alu instid0(VALU_DEP_2)
	v_and_b32_e32 v10, 7, v8
	s_wait_alu 0xfffd
	v_cndmask_b32_e32 v6, v11, v6, vcc_lo
	v_cmp_ne_u32_e32 vcc_lo, 0, v2
	v_lshrrev_b32_e32 v8, 2, v8
	v_cmp_eq_u32_e64 s0, 3, v10
	s_delay_alu instid0(VALU_DEP_4)
	v_and_b32_e32 v11, 7, v6
	s_wait_alu 0xfffd
	v_cndmask_b32_e64 v2, 0, 1, vcc_lo
	v_cmp_ne_u32_e32 vcc_lo, 0, v4
	v_lshrrev_b32_e32 v6, 2, v6
	v_cmp_lt_i32_e64 s1, 5, v11
	v_cmp_eq_u32_e64 s2, 3, v11
	s_wait_alu 0xfffd
	v_cndmask_b32_e64 v4, 0, 1, vcc_lo
	v_cmp_lt_i32_e32 vcc_lo, 5, v10
	v_lshl_or_b32 v2, v2, 9, 0x7c00
	s_delay_alu instid0(VALU_DEP_3)
	v_lshl_or_b32 v4, v4, 9, 0x7c00
	s_or_b32 vcc_lo, s0, vcc_lo
	s_wait_alu 0xfffe
	v_add_co_ci_u32_e32 v8, vcc_lo, 0, v8, vcc_lo
	s_or_b32 vcc_lo, s2, s1
	s_wait_alu 0xfffe
	v_add_co_ci_u32_e32 v6, vcc_lo, 0, v6, vcc_lo
	v_cmp_gt_i32_e32 vcc_lo, 31, v7
	s_wait_alu 0xfffd
	v_cndmask_b32_e32 v8, 0x7c00, v8, vcc_lo
	v_cmp_gt_i32_e32 vcc_lo, 31, v9
	s_wait_alu 0xfffd
	v_cndmask_b32_e32 v6, 0x7c00, v6, vcc_lo
	v_cmp_eq_u32_e32 vcc_lo, 0x40f, v7
	s_wait_alu 0xfffd
	v_cndmask_b32_e32 v2, v8, v2, vcc_lo
	v_cmp_eq_u32_e32 vcc_lo, 0x40f, v9
	s_delay_alu instid0(VALU_DEP_2)
	v_and_or_b32 v2, 0x8000, v3, v2
	s_wait_alu 0xfffd
	v_cndmask_b32_e32 v4, v6, v4, vcc_lo
	v_add_co_u32 v0, vcc_lo, v0, s6
	s_wait_alu 0xfffd
	v_add_co_ci_u32_e32 v1, vcc_lo, s7, v1, vcc_lo
	s_delay_alu instid0(VALU_DEP_3) | instskip(SKIP_1) | instid1(VALU_DEP_1)
	v_and_or_b32 v3, 0x8000, v5, v4
	v_and_b32_e32 v2, 0xffff, v2
	v_lshl_or_b32 v2, v3, 16, v2
	global_store_b32 v[0:1], v2, off
.LBB0_15:
	s_nop 0
	s_sendmsg sendmsg(MSG_DEALLOC_VGPRS)
	s_endpgm
	.section	.rodata,"a",@progbits
	.p2align	6, 0x0
	.amdhsa_kernel bluestein_single_back_len195_dim1_half_op_CI_CI
		.amdhsa_group_segment_fixed_size 3120
		.amdhsa_private_segment_fixed_size 0
		.amdhsa_kernarg_size 104
		.amdhsa_user_sgpr_count 2
		.amdhsa_user_sgpr_dispatch_ptr 0
		.amdhsa_user_sgpr_queue_ptr 0
		.amdhsa_user_sgpr_kernarg_segment_ptr 1
		.amdhsa_user_sgpr_dispatch_id 0
		.amdhsa_user_sgpr_private_segment_size 0
		.amdhsa_wavefront_size32 1
		.amdhsa_uses_dynamic_stack 0
		.amdhsa_enable_private_segment 0
		.amdhsa_system_sgpr_workgroup_id_x 1
		.amdhsa_system_sgpr_workgroup_id_y 0
		.amdhsa_system_sgpr_workgroup_id_z 0
		.amdhsa_system_sgpr_workgroup_info 0
		.amdhsa_system_vgpr_workitem_id 0
		.amdhsa_next_free_vgpr 202
		.amdhsa_next_free_sgpr 16
		.amdhsa_reserve_vcc 1
		.amdhsa_float_round_mode_32 0
		.amdhsa_float_round_mode_16_64 0
		.amdhsa_float_denorm_mode_32 3
		.amdhsa_float_denorm_mode_16_64 3
		.amdhsa_fp16_overflow 0
		.amdhsa_workgroup_processor_mode 1
		.amdhsa_memory_ordered 1
		.amdhsa_forward_progress 0
		.amdhsa_round_robin_scheduling 0
		.amdhsa_exception_fp_ieee_invalid_op 0
		.amdhsa_exception_fp_denorm_src 0
		.amdhsa_exception_fp_ieee_div_zero 0
		.amdhsa_exception_fp_ieee_overflow 0
		.amdhsa_exception_fp_ieee_underflow 0
		.amdhsa_exception_fp_ieee_inexact 0
		.amdhsa_exception_int_div_zero 0
	.end_amdhsa_kernel
	.text
.Lfunc_end0:
	.size	bluestein_single_back_len195_dim1_half_op_CI_CI, .Lfunc_end0-bluestein_single_back_len195_dim1_half_op_CI_CI
                                        ; -- End function
	.section	.AMDGPU.csdata,"",@progbits
; Kernel info:
; codeLenInByte = 43840
; NumSgprs: 18
; NumVgprs: 202
; ScratchSize: 0
; MemoryBound: 0
; FloatMode: 240
; IeeeMode: 1
; LDSByteSize: 3120 bytes/workgroup (compile time only)
; SGPRBlocks: 2
; VGPRBlocks: 25
; NumSGPRsForWavesPerEU: 18
; NumVGPRsForWavesPerEU: 202
; Occupancy: 7
; WaveLimiterHint : 1
; COMPUTE_PGM_RSRC2:SCRATCH_EN: 0
; COMPUTE_PGM_RSRC2:USER_SGPR: 2
; COMPUTE_PGM_RSRC2:TRAP_HANDLER: 0
; COMPUTE_PGM_RSRC2:TGID_X_EN: 1
; COMPUTE_PGM_RSRC2:TGID_Y_EN: 0
; COMPUTE_PGM_RSRC2:TGID_Z_EN: 0
; COMPUTE_PGM_RSRC2:TIDIG_COMP_CNT: 0
	.text
	.p2alignl 7, 3214868480
	.fill 96, 4, 3214868480
	.type	__hip_cuid_dd0c003cfc6e12ab,@object ; @__hip_cuid_dd0c003cfc6e12ab
	.section	.bss,"aw",@nobits
	.globl	__hip_cuid_dd0c003cfc6e12ab
__hip_cuid_dd0c003cfc6e12ab:
	.byte	0                               ; 0x0
	.size	__hip_cuid_dd0c003cfc6e12ab, 1

	.ident	"AMD clang version 19.0.0git (https://github.com/RadeonOpenCompute/llvm-project roc-6.4.0 25133 c7fe45cf4b819c5991fe208aaa96edf142730f1d)"
	.section	".note.GNU-stack","",@progbits
	.addrsig
	.addrsig_sym __hip_cuid_dd0c003cfc6e12ab
	.amdgpu_metadata
---
amdhsa.kernels:
  - .args:
      - .actual_access:  read_only
        .address_space:  global
        .offset:         0
        .size:           8
        .value_kind:     global_buffer
      - .actual_access:  read_only
        .address_space:  global
        .offset:         8
        .size:           8
        .value_kind:     global_buffer
      - .actual_access:  read_only
        .address_space:  global
        .offset:         16
        .size:           8
        .value_kind:     global_buffer
      - .actual_access:  read_only
        .address_space:  global
        .offset:         24
        .size:           8
        .value_kind:     global_buffer
      - .actual_access:  read_only
        .address_space:  global
        .offset:         32
        .size:           8
        .value_kind:     global_buffer
      - .offset:         40
        .size:           8
        .value_kind:     by_value
      - .address_space:  global
        .offset:         48
        .size:           8
        .value_kind:     global_buffer
      - .address_space:  global
        .offset:         56
        .size:           8
        .value_kind:     global_buffer
      - .address_space:  global
        .offset:         64
        .size:           8
        .value_kind:     global_buffer
      - .address_space:  global
        .offset:         72
        .size:           8
        .value_kind:     global_buffer
      - .offset:         80
        .size:           4
        .value_kind:     by_value
      - .address_space:  global
        .offset:         88
        .size:           8
        .value_kind:     global_buffer
      - .address_space:  global
        .offset:         96
        .size:           8
        .value_kind:     global_buffer
    .group_segment_fixed_size: 3120
    .kernarg_segment_align: 8
    .kernarg_segment_size: 104
    .language:       OpenCL C
    .language_version:
      - 2
      - 0
    .max_flat_workgroup_size: 52
    .name:           bluestein_single_back_len195_dim1_half_op_CI_CI
    .private_segment_fixed_size: 0
    .sgpr_count:     18
    .sgpr_spill_count: 0
    .symbol:         bluestein_single_back_len195_dim1_half_op_CI_CI.kd
    .uniform_work_group_size: 1
    .uses_dynamic_stack: false
    .vgpr_count:     202
    .vgpr_spill_count: 0
    .wavefront_size: 32
    .workgroup_processor_mode: 1
amdhsa.target:   amdgcn-amd-amdhsa--gfx1201
amdhsa.version:
  - 1
  - 2
...

	.end_amdgpu_metadata
